;; amdgpu-corpus repo=ROCm/rocFFT kind=compiled arch=gfx1201 opt=O3
	.text
	.amdgcn_target "amdgcn-amd-amdhsa--gfx1201"
	.amdhsa_code_object_version 6
	.protected	fft_rtc_back_len289_factors_17_17_wgs_119_tpt_17_sp_ip_CI_sbcc_twdbase5_3step_dirReg ; -- Begin function fft_rtc_back_len289_factors_17_17_wgs_119_tpt_17_sp_ip_CI_sbcc_twdbase5_3step_dirReg
	.globl	fft_rtc_back_len289_factors_17_17_wgs_119_tpt_17_sp_ip_CI_sbcc_twdbase5_3step_dirReg
	.p2align	8
	.type	fft_rtc_back_len289_factors_17_17_wgs_119_tpt_17_sp_ip_CI_sbcc_twdbase5_3step_dirReg,@function
fft_rtc_back_len289_factors_17_17_wgs_119_tpt_17_sp_ip_CI_sbcc_twdbase5_3step_dirReg: ; @fft_rtc_back_len289_factors_17_17_wgs_119_tpt_17_sp_ip_CI_sbcc_twdbase5_3step_dirReg
; %bb.0:
	s_load_b256 s[4:11], s[0:1], 0x8
	s_mov_b32 s16, ttmp9
	s_mov_b32 s2, exec_lo
	v_cmpx_gt_u32_e32 0x60, v0
	s_cbranch_execz .LBB0_2
; %bb.1:
	v_lshlrev_b32_e32 v3, 3, v0
	s_wait_kmcnt 0x0
	global_load_b64 v[1:2], v3, s[4:5]
	v_add_nc_u32_e32 v3, 0, v3
	s_wait_loadcnt 0x0
	ds_store_b64 v3, v[1:2] offset:16184
.LBB0_2:
	s_or_b32 exec_lo, exec_lo, s2
	s_mov_b32 s17, 0
	s_mov_b32 s2, 0x92481000
	s_movk_i32 s3, 0x64
	s_wait_kmcnt 0x0
	s_mov_b32 s4, s17
	s_mov_b32 s5, s17
	s_mov_b32 s19, s17
	s_add_nc_u64 s[4:5], s[4:5], s[2:3]
	s_load_b64 s[2:3], s[8:9], 0x8
	s_add_co_i32 s5, s5, 0x249248c0
	s_mov_b64 s[24:25], 0
	s_mul_u64 s[12:13], s[4:5], -7
	s_delay_alu instid0(SALU_CYCLE_1)
	s_mul_hi_u32 s15, s4, s13
	s_mul_i32 s14, s4, s13
	s_mul_hi_u32 s18, s4, s12
	s_mul_hi_u32 s20, s5, s12
	s_mul_i32 s12, s5, s12
	s_add_nc_u64 s[14:15], s[18:19], s[14:15]
	s_mul_hi_u32 s18, s5, s13
	s_add_co_u32 s12, s14, s12
	s_add_co_ci_u32 s12, s15, s20
	s_add_co_ci_u32 s15, s18, 0
	s_mul_i32 s14, s5, s13
	s_mov_b32 s13, s17
	s_delay_alu instid0(SALU_CYCLE_1) | instskip(NEXT) | instid1(SALU_CYCLE_1)
	s_add_nc_u64 s[12:13], s[12:13], s[14:15]
	v_add_co_u32 v1, s4, s4, s12
	s_delay_alu instid0(VALU_DEP_1)
	s_cmp_lg_u32 s4, 0
	s_wait_kmcnt 0x0
	s_add_nc_u64 s[14:15], s[2:3], -1
	s_add_co_ci_u32 s19, s5, s13
	v_readfirstlane_b32 s18, v1
	s_mul_hi_u32 s5, s14, s19
	s_mul_i32 s4, s14, s19
	s_mov_b32 s13, s17
	s_delay_alu instid0(VALU_DEP_1)
	s_mul_hi_u32 s12, s14, s18
	s_wait_alu 0xfffe
	s_add_nc_u64 s[4:5], s[12:13], s[4:5]
	s_mul_i32 s13, s15, s18
	s_mul_hi_u32 s18, s15, s18
	s_mul_hi_u32 s12, s15, s19
	s_wait_alu 0xfffe
	s_add_co_u32 s4, s4, s13
	s_add_co_ci_u32 s4, s5, s18
	s_add_co_ci_u32 s13, s12, 0
	s_mul_i32 s12, s15, s19
	s_mov_b32 s5, s17
	s_wait_alu 0xfffe
	s_add_nc_u64 s[4:5], s[4:5], s[12:13]
	s_wait_alu 0xfffe
	s_mul_u64 s[12:13], s[4:5], 7
	s_wait_alu 0xfffe
	v_sub_co_u32 v1, s12, s14, s12
	s_delay_alu instid0(VALU_DEP_1) | instskip(SKIP_1) | instid1(VALU_DEP_1)
	s_cmp_lg_u32 s12, 0
	s_sub_co_ci_u32 s18, s15, s13
	v_sub_co_u32 v2, s14, v1, 7
	s_delay_alu instid0(VALU_DEP_1) | instskip(SKIP_2) | instid1(VALU_DEP_2)
	s_cmp_lg_u32 s14, 0
	v_readfirstlane_b32 s20, v1
	s_sub_co_ci_u32 s14, s18, 0
	v_readfirstlane_b32 s12, v2
	s_delay_alu instid0(VALU_DEP_1)
	s_cmp_gt_u32 s12, 6
	s_add_nc_u64 s[12:13], s[4:5], 1
	s_cselect_b32 s19, -1, 0
	s_wait_alu 0xfffe
	s_cmp_eq_u32 s14, 0
	s_add_nc_u64 s[14:15], s[4:5], 2
	s_cselect_b32 s19, s19, -1
	s_delay_alu instid0(SALU_CYCLE_1)
	s_cmp_lg_u32 s19, 0
	s_wait_alu 0xfffe
	s_cselect_b32 s12, s14, s12
	s_cselect_b32 s13, s15, s13
	s_cmp_gt_u32 s20, 6
	s_cselect_b32 s14, -1, 0
	s_cmp_eq_u32 s18, 0
	s_wait_alu 0xfffe
	s_cselect_b32 s14, s14, -1
	s_wait_alu 0xfffe
	s_cmp_lg_u32 s14, 0
	s_cselect_b32 s5, s13, s5
	s_cselect_b32 s4, s12, s4
	s_wait_alu 0xfffe
	s_add_nc_u64 s[18:19], s[4:5], 1
	s_delay_alu instid0(SALU_CYCLE_1) | instskip(NEXT) | instid1(VALU_DEP_1)
	v_cmp_lt_u64_e64 s4, s[16:17], s[18:19]
	s_and_b32 vcc_lo, exec_lo, s4
	s_cbranch_vccnz .LBB0_4
; %bb.3:
	v_cvt_f32_u32_e32 v1, s18
	s_sub_co_i32 s5, 0, s18
	s_mov_b32 s25, s17
	s_delay_alu instid0(VALU_DEP_1) | instskip(NEXT) | instid1(TRANS32_DEP_1)
	v_rcp_iflag_f32_e32 v1, v1
	v_mul_f32_e32 v1, 0x4f7ffffe, v1
	s_delay_alu instid0(VALU_DEP_1) | instskip(NEXT) | instid1(VALU_DEP_1)
	v_cvt_u32_f32_e32 v1, v1
	v_readfirstlane_b32 s4, v1
	s_wait_alu 0xfffe
	s_delay_alu instid0(VALU_DEP_1)
	s_mul_i32 s5, s5, s4
	s_wait_alu 0xfffe
	s_mul_hi_u32 s5, s4, s5
	s_wait_alu 0xfffe
	s_add_co_i32 s4, s4, s5
	s_wait_alu 0xfffe
	s_mul_hi_u32 s4, s16, s4
	s_wait_alu 0xfffe
	s_mul_i32 s5, s4, s18
	s_add_co_i32 s12, s4, 1
	s_wait_alu 0xfffe
	s_sub_co_i32 s5, s16, s5
	s_wait_alu 0xfffe
	s_sub_co_i32 s13, s5, s18
	s_cmp_ge_u32 s5, s18
	s_cselect_b32 s4, s12, s4
	s_wait_alu 0xfffe
	s_cselect_b32 s5, s13, s5
	s_add_co_i32 s12, s4, 1
	s_wait_alu 0xfffe
	s_cmp_ge_u32 s5, s18
	s_cselect_b32 s24, s12, s4
.LBB0_4:
	s_load_b128 s[12:15], s[10:11], 0x0
	s_load_b64 s[4:5], s[0:1], 0x0
	v_cmp_lt_u64_e64 s26, s[6:7], 3
	s_mul_u64 s[20:21], s[24:25], s[18:19]
	s_delay_alu instid0(SALU_CYCLE_1) | instskip(NEXT) | instid1(SALU_CYCLE_1)
	s_sub_nc_u64 s[20:21], s[16:17], s[20:21]
	s_mul_u64 s[22:23], s[20:21], 7
	s_delay_alu instid0(VALU_DEP_1)
	s_and_b32 vcc_lo, exec_lo, s26
	s_wait_kmcnt 0x0
	s_mul_u64 s[20:21], s[14:15], s[22:23]
	s_cbranch_vccnz .LBB0_14
; %bb.5:
	s_add_nc_u64 s[26:27], s[10:11], 16
	s_add_nc_u64 s[8:9], s[8:9], 16
	s_mov_b64 s[28:29], 2
	s_mov_b32 s30, 0
.LBB0_6:                                ; =>This Inner Loop Header: Depth=1
	s_load_b64 s[34:35], s[8:9], 0x0
                                        ; implicit-def: $sgpr38_sgpr39
	s_wait_kmcnt 0x0
	s_or_b64 s[36:37], s[24:25], s[34:35]
	s_delay_alu instid0(SALU_CYCLE_1)
	s_mov_b32 s31, s37
	s_mov_b32 s37, -1
	s_wait_alu 0xfffe
	s_cmp_lg_u64 s[30:31], 0
	s_cbranch_scc0 .LBB0_8
; %bb.7:                                ;   in Loop: Header=BB0_6 Depth=1
	s_cvt_f32_u32 s31, s34
	s_cvt_f32_u32 s33, s35
	s_sub_nc_u64 s[40:41], 0, s[34:35]
	s_mov_b32 s37, 0
	s_mov_b32 s45, s30
	s_wait_alu 0xfffe
	s_fmamk_f32 s31, s33, 0x4f800000, s31
	s_wait_alu 0xfffe
	s_delay_alu instid0(SALU_CYCLE_2) | instskip(NEXT) | instid1(TRANS32_DEP_1)
	v_s_rcp_f32 s31, s31
	s_mul_f32 s31, s31, 0x5f7ffffc
	s_wait_alu 0xfffe
	s_delay_alu instid0(SALU_CYCLE_2) | instskip(NEXT) | instid1(SALU_CYCLE_3)
	s_mul_f32 s33, s31, 0x2f800000
	s_trunc_f32 s33, s33
	s_delay_alu instid0(SALU_CYCLE_3) | instskip(SKIP_2) | instid1(SALU_CYCLE_1)
	s_fmamk_f32 s31, s33, 0xcf800000, s31
	s_cvt_u32_f32 s39, s33
	s_wait_alu 0xfffe
	s_cvt_u32_f32 s38, s31
	s_wait_alu 0xfffe
	s_delay_alu instid0(SALU_CYCLE_2)
	s_mul_u64 s[42:43], s[40:41], s[38:39]
	s_wait_alu 0xfffe
	s_mul_hi_u32 s47, s38, s43
	s_mul_i32 s46, s38, s43
	s_mul_hi_u32 s36, s38, s42
	s_mul_i32 s33, s39, s42
	s_add_nc_u64 s[46:47], s[36:37], s[46:47]
	s_mul_hi_u32 s31, s39, s42
	s_mul_hi_u32 s48, s39, s43
	s_add_co_u32 s33, s46, s33
	s_wait_alu 0xfffe
	s_add_co_ci_u32 s44, s47, s31
	s_mul_i32 s42, s39, s43
	s_add_co_ci_u32 s43, s48, 0
	s_wait_alu 0xfffe
	s_add_nc_u64 s[42:43], s[44:45], s[42:43]
	s_wait_alu 0xfffe
	v_add_co_u32 v1, s31, s38, s42
	s_delay_alu instid0(VALU_DEP_1) | instskip(SKIP_1) | instid1(VALU_DEP_1)
	s_cmp_lg_u32 s31, 0
	s_add_co_ci_u32 s39, s39, s43
	v_readfirstlane_b32 s38, v1
	s_mov_b32 s43, s30
	s_wait_alu 0xfffe
	s_delay_alu instid0(VALU_DEP_1)
	s_mul_u64 s[40:41], s[40:41], s[38:39]
	s_wait_alu 0xfffe
	s_mul_hi_u32 s45, s38, s41
	s_mul_i32 s44, s38, s41
	s_mul_hi_u32 s36, s38, s40
	s_mul_i32 s33, s39, s40
	s_add_nc_u64 s[44:45], s[36:37], s[44:45]
	s_mul_hi_u32 s31, s39, s40
	s_mul_hi_u32 s38, s39, s41
	s_add_co_u32 s33, s44, s33
	s_wait_alu 0xfffe
	s_add_co_ci_u32 s42, s45, s31
	s_mul_i32 s40, s39, s41
	s_add_co_ci_u32 s41, s38, 0
	s_wait_alu 0xfffe
	s_add_nc_u64 s[40:41], s[42:43], s[40:41]
	s_wait_alu 0xfffe
	v_add_co_u32 v1, s31, v1, s40
	s_delay_alu instid0(VALU_DEP_1) | instskip(SKIP_1) | instid1(VALU_DEP_1)
	s_cmp_lg_u32 s31, 0
	s_add_co_ci_u32 s31, s39, s41
	v_readfirstlane_b32 s33, v1
	s_wait_alu 0xfffe
	s_mul_hi_u32 s39, s24, s31
	s_mul_i32 s38, s24, s31
	s_mul_hi_u32 s41, s25, s31
	s_mul_i32 s40, s25, s31
	;; [unrolled: 2-line block ×3, first 2 shown]
	s_wait_alu 0xfffe
	s_add_nc_u64 s[38:39], s[36:37], s[38:39]
	s_mul_hi_u32 s33, s25, s33
	s_wait_alu 0xfffe
	s_add_co_u32 s31, s38, s31
	s_add_co_ci_u32 s42, s39, s33
	s_add_co_ci_u32 s41, s41, 0
	s_wait_alu 0xfffe
	s_add_nc_u64 s[38:39], s[42:43], s[40:41]
	s_wait_alu 0xfffe
	s_mul_u64 s[40:41], s[34:35], s[38:39]
	s_add_nc_u64 s[42:43], s[38:39], 1
	s_wait_alu 0xfffe
	v_sub_co_u32 v1, s31, s24, s40
	s_sub_co_i32 s33, s25, s41
	s_cmp_lg_u32 s31, 0
	s_add_nc_u64 s[44:45], s[38:39], 2
	s_delay_alu instid0(VALU_DEP_1) | instskip(SKIP_2) | instid1(VALU_DEP_1)
	v_sub_co_u32 v2, s36, v1, s34
	s_sub_co_ci_u32 s33, s33, s35
	s_cmp_lg_u32 s36, 0
	v_readfirstlane_b32 s36, v2
	s_sub_co_ci_u32 s33, s33, 0
	s_delay_alu instid0(SALU_CYCLE_1) | instskip(SKIP_1) | instid1(VALU_DEP_1)
	s_cmp_ge_u32 s33, s35
	s_cselect_b32 s40, -1, 0
	s_cmp_ge_u32 s36, s34
	s_cselect_b32 s36, -1, 0
	s_cmp_eq_u32 s33, s35
	s_wait_alu 0xfffe
	s_cselect_b32 s33, s36, s40
	s_delay_alu instid0(SALU_CYCLE_1)
	s_cmp_lg_u32 s33, 0
	s_cselect_b32 s33, s44, s42
	s_cselect_b32 s36, s45, s43
	s_cmp_lg_u32 s31, 0
	v_readfirstlane_b32 s31, v1
	s_sub_co_ci_u32 s40, s25, s41
	s_wait_alu 0xfffe
	s_cmp_ge_u32 s40, s35
	s_cselect_b32 s41, -1, 0
	s_cmp_ge_u32 s31, s34
	s_cselect_b32 s31, -1, 0
	s_cmp_eq_u32 s40, s35
	s_wait_alu 0xfffe
	s_cselect_b32 s31, s31, s41
	s_wait_alu 0xfffe
	s_cmp_lg_u32 s31, 0
	s_cselect_b32 s39, s36, s39
	s_cselect_b32 s38, s33, s38
.LBB0_8:                                ;   in Loop: Header=BB0_6 Depth=1
	s_and_not1_b32 vcc_lo, exec_lo, s37
	s_cbranch_vccnz .LBB0_10
; %bb.9:                                ;   in Loop: Header=BB0_6 Depth=1
	v_cvt_f32_u32_e32 v1, s34
	s_sub_co_i32 s33, 0, s34
	s_mov_b32 s39, s30
	s_delay_alu instid0(VALU_DEP_1) | instskip(NEXT) | instid1(TRANS32_DEP_1)
	v_rcp_iflag_f32_e32 v1, v1
	v_mul_f32_e32 v1, 0x4f7ffffe, v1
	s_delay_alu instid0(VALU_DEP_1) | instskip(NEXT) | instid1(VALU_DEP_1)
	v_cvt_u32_f32_e32 v1, v1
	v_readfirstlane_b32 s31, v1
	s_delay_alu instid0(VALU_DEP_1) | instskip(NEXT) | instid1(SALU_CYCLE_1)
	s_mul_i32 s33, s33, s31
	s_mul_hi_u32 s33, s31, s33
	s_delay_alu instid0(SALU_CYCLE_1)
	s_add_co_i32 s31, s31, s33
	s_wait_alu 0xfffe
	s_mul_hi_u32 s31, s24, s31
	s_wait_alu 0xfffe
	s_mul_i32 s33, s31, s34
	s_add_co_i32 s36, s31, 1
	s_sub_co_i32 s33, s24, s33
	s_delay_alu instid0(SALU_CYCLE_1)
	s_sub_co_i32 s37, s33, s34
	s_cmp_ge_u32 s33, s34
	s_cselect_b32 s31, s36, s31
	s_cselect_b32 s33, s37, s33
	s_wait_alu 0xfffe
	s_add_co_i32 s36, s31, 1
	s_cmp_ge_u32 s33, s34
	s_cselect_b32 s38, s36, s31
.LBB0_10:                               ;   in Loop: Header=BB0_6 Depth=1
	s_load_b64 s[36:37], s[26:27], 0x0
	s_add_nc_u64 s[28:29], s[28:29], 1
	s_mul_u64 s[18:19], s[34:35], s[18:19]
	s_wait_alu 0xfffe
	v_cmp_ge_u64_e64 s31, s[28:29], s[6:7]
	s_mul_u64 s[34:35], s[38:39], s[34:35]
	s_add_nc_u64 s[26:27], s[26:27], 8
	s_wait_alu 0xfffe
	s_sub_nc_u64 s[24:25], s[24:25], s[34:35]
	s_add_nc_u64 s[8:9], s[8:9], 8
	s_and_b32 vcc_lo, exec_lo, s31
	s_wait_kmcnt 0x0
	s_wait_alu 0xfffe
	s_mul_u64 s[24:25], s[36:37], s[24:25]
	s_wait_alu 0xfffe
	s_add_nc_u64 s[20:21], s[24:25], s[20:21]
	s_cbranch_vccnz .LBB0_12
; %bb.11:                               ;   in Loop: Header=BB0_6 Depth=1
	s_mov_b64 s[24:25], s[38:39]
	s_branch .LBB0_6
.LBB0_12:
	v_cmp_lt_u64_e64 s8, s[16:17], s[18:19]
	s_mov_b64 s[24:25], 0
	s_delay_alu instid0(VALU_DEP_1)
	s_and_b32 vcc_lo, exec_lo, s8
	s_cbranch_vccnz .LBB0_14
; %bb.13:
	v_cvt_f32_u32_e32 v1, s18
	s_sub_co_i32 s9, 0, s18
	s_mov_b32 s25, 0
	s_delay_alu instid0(VALU_DEP_1) | instskip(NEXT) | instid1(TRANS32_DEP_1)
	v_rcp_iflag_f32_e32 v1, v1
	v_mul_f32_e32 v1, 0x4f7ffffe, v1
	s_delay_alu instid0(VALU_DEP_1) | instskip(NEXT) | instid1(VALU_DEP_1)
	v_cvt_u32_f32_e32 v1, v1
	v_readfirstlane_b32 s8, v1
	s_delay_alu instid0(VALU_DEP_1) | instskip(NEXT) | instid1(SALU_CYCLE_1)
	s_mul_i32 s9, s9, s8
	s_mul_hi_u32 s9, s8, s9
	s_delay_alu instid0(SALU_CYCLE_1) | instskip(NEXT) | instid1(SALU_CYCLE_1)
	s_add_co_i32 s8, s8, s9
	s_mul_hi_u32 s8, s16, s8
	s_delay_alu instid0(SALU_CYCLE_1) | instskip(NEXT) | instid1(SALU_CYCLE_1)
	s_mul_i32 s9, s8, s18
	s_sub_co_i32 s9, s16, s9
	s_add_co_i32 s16, s8, 1
	s_sub_co_i32 s17, s9, s18
	s_cmp_ge_u32 s9, s18
	s_wait_alu 0xfffe
	s_cselect_b32 s8, s16, s8
	s_cselect_b32 s9, s17, s9
	s_add_co_i32 s16, s8, 1
	s_cmp_ge_u32 s9, s18
	s_wait_alu 0xfffe
	s_cselect_b32 s24, s16, s8
.LBB0_14:
	v_mul_hi_u32 v35, 0x24924925, v0
	s_lshl_b64 s[6:7], s[6:7], 3
	s_load_b64 s[0:1], s[0:1], 0x58
	s_add_nc_u64 s[6:7], s[10:11], s[6:7]
                                        ; implicit-def: $vgpr26
                                        ; implicit-def: $vgpr8
                                        ; implicit-def: $vgpr28
                                        ; implicit-def: $vgpr22
                                        ; implicit-def: $vgpr20
                                        ; implicit-def: $vgpr16
                                        ; implicit-def: $vgpr12
                                        ; implicit-def: $vgpr6
                                        ; implicit-def: $vgpr2
                                        ; implicit-def: $vgpr34
                                        ; implicit-def: $vgpr32
                                        ; implicit-def: $vgpr30
                                        ; implicit-def: $vgpr24
                                        ; implicit-def: $vgpr18
                                        ; implicit-def: $vgpr14
                                        ; implicit-def: $vgpr10
                                        ; implicit-def: $vgpr4
	s_load_b64 s[6:7], s[6:7], 0x0
	s_delay_alu instid0(VALU_DEP_1) | instskip(NEXT) | instid1(VALU_DEP_1)
	v_mul_u32_u24_e32 v1, 7, v35
	v_sub_nc_u32_e32 v106, v0, v1
	s_delay_alu instid0(VALU_DEP_1) | instskip(NEXT) | instid1(VALU_DEP_1)
	v_add_co_u32 v65, s8, s22, v106
	v_add_co_ci_u32_e64 v66, null, s23, 0, s8
	s_add_nc_u64 s[8:9], s[22:23], 7
	s_wait_alu 0xfffe
	v_cmp_le_u64_e64 s8, s[8:9], s[2:3]
	s_delay_alu instid0(VALU_DEP_2)
	v_cmp_gt_u64_e32 vcc_lo, s[2:3], v[65:66]
	s_wait_kmcnt 0x0
	s_mul_u64 s[2:3], s[6:7], s[24:25]
	s_wait_alu 0xfffe
	s_add_nc_u64 s[2:3], s[2:3], s[20:21]
	s_or_b32 s6, s8, vcc_lo
	s_wait_alu 0xfffe
	s_and_saveexec_b32 s7, s6
	s_cbranch_execz .LBB0_16
; %bb.15:
	v_mad_co_u64_u32 v[1:2], null, s14, v106, 0
	v_mad_co_u64_u32 v[3:4], null, s12, v35, 0
	s_lshl_b64 s[8:9], s[2:3], 3
	v_add_nc_u32_e32 v31, 0xaa, v35
	s_wait_alu 0xfffe
	s_add_nc_u64 s[8:9], s[0:1], s[8:9]
	v_add_nc_u32_e32 v17, 0x55, v35
	v_add_nc_u32_e32 v20, 0x77, v35
	;; [unrolled: 1-line block ×3, first 2 shown]
	v_mad_co_u64_u32 v[7:8], null, s15, v106, v[2:3]
	v_add_nc_u32_e32 v13, 34, v35
	s_delay_alu instid0(VALU_DEP_4)
	v_mad_co_u64_u32 v[18:19], null, s12, v20, 0
	v_mad_co_u64_u32 v[29:30], null, s12, v31, 0
	v_add_nc_u32_e32 v36, 0xdd, v35
	v_mov_b32_e32 v2, v7
	v_mad_co_u64_u32 v[8:9], null, s12, v13, 0
	v_add_nc_u32_e32 v12, 17, v35
	s_delay_alu instid0(VALU_DEP_3) | instskip(NEXT) | instid1(VALU_DEP_3)
	v_lshlrev_b64_e32 v[1:2], 3, v[1:2]
	v_mov_b32_e32 v7, v9
	s_delay_alu instid0(VALU_DEP_3) | instskip(SKIP_1) | instid1(VALU_DEP_3)
	v_mad_co_u64_u32 v[5:6], null, s12, v12, 0
	s_wait_alu 0xfffe
	v_add_co_u32 v42, vcc_lo, s8, v1
	s_delay_alu instid0(VALU_DEP_4) | instskip(NEXT) | instid1(VALU_DEP_3)
	v_add_co_ci_u32_e32 v43, vcc_lo, s9, v2, vcc_lo
	v_mad_co_u64_u32 v[10:11], null, s13, v35, v[4:5]
	s_delay_alu instid0(VALU_DEP_1) | instskip(SKIP_3) | instid1(VALU_DEP_4)
	v_mov_b32_e32 v4, v10
	v_mad_co_u64_u32 v[9:10], null, s13, v12, v[6:7]
	v_mad_co_u64_u32 v[10:11], null, s13, v13, v[7:8]
	v_add_nc_u32_e32 v14, 51, v35
	v_lshlrev_b64_e32 v[3:4], 3, v[3:4]
	v_mad_co_u64_u32 v[12:13], null, s12, v17, 0
	v_mov_b32_e32 v6, v9
	v_dual_mov_b32 v9, v10 :: v_dual_add_nc_u32 v16, 0x44, v35
	v_mad_co_u64_u32 v[1:2], null, s12, v14, 0
	v_add_co_u32 v3, vcc_lo, v42, v3
	s_delay_alu instid0(VALU_DEP_3) | instskip(SKIP_2) | instid1(VALU_DEP_3)
	v_lshlrev_b64_e32 v[7:8], 3, v[8:9]
	s_wait_alu 0xfffd
	v_add_co_ci_u32_e32 v4, vcc_lo, v43, v4, vcc_lo
	v_mad_co_u64_u32 v[9:10], null, s13, v14, v[2:3]
	v_mad_co_u64_u32 v[10:11], null, s12, v16, 0
	s_delay_alu instid0(VALU_DEP_1) | instskip(SKIP_1) | instid1(VALU_DEP_1)
	v_dual_mov_b32 v2, v9 :: v_dual_mov_b32 v9, v11
	v_lshlrev_b64_e32 v[5:6], 3, v[5:6]
	v_add_co_u32 v5, vcc_lo, v42, v5
	s_wait_alu 0xfffd
	s_delay_alu instid0(VALU_DEP_2)
	v_add_co_ci_u32_e32 v6, vcc_lo, v43, v6, vcc_lo
	v_add_co_u32 v14, vcc_lo, v42, v7
	s_wait_alu 0xfffd
	v_add_co_ci_u32_e32 v15, vcc_lo, v43, v8, vcc_lo
	v_mov_b32_e32 v7, v13
	v_mad_co_u64_u32 v[8:9], null, s13, v16, v[9:10]
	v_add_nc_u32_e32 v9, 0x66, v35
	v_lshlrev_b64_e32 v[1:2], 3, v[1:2]
	s_delay_alu instid0(VALU_DEP_3) | instskip(NEXT) | instid1(VALU_DEP_2)
	v_mad_co_u64_u32 v[16:17], null, s13, v17, v[7:8]
	v_add_co_u32 v1, vcc_lo, v42, v1
	s_wait_alu 0xfffd
	s_delay_alu instid0(VALU_DEP_3)
	v_add_co_ci_u32_e32 v2, vcc_lo, v43, v2, vcc_lo
	v_mov_b32_e32 v11, v8
	s_clause 0x3
	global_load_b64 v[25:26], v[3:4], off
	global_load_b64 v[7:8], v[5:6], off
	;; [unrolled: 1-line block ×4, first 2 shown]
	v_dual_mov_b32 v13, v16 :: v_dual_mov_b32 v6, v19
	v_mad_co_u64_u32 v[16:17], null, s12, v9, 0
	v_lshlrev_b64_e32 v[1:2], 3, v[10:11]
	s_delay_alu instid0(VALU_DEP_3) | instskip(NEXT) | instid1(VALU_DEP_3)
	v_lshlrev_b64_e32 v[4:5], 3, v[12:13]
	v_mov_b32_e32 v3, v17
	s_delay_alu instid0(VALU_DEP_3) | instskip(SKIP_1) | instid1(VALU_DEP_4)
	v_add_co_u32 v1, vcc_lo, v42, v1
	s_wait_alu 0xfffd
	v_add_co_ci_u32_e32 v2, vcc_lo, v43, v2, vcc_lo
	s_delay_alu instid0(VALU_DEP_3) | instskip(SKIP_3) | instid1(VALU_DEP_3)
	v_mad_co_u64_u32 v[9:10], null, s13, v9, v[3:4]
	v_add_co_u32 v3, vcc_lo, v42, v4
	s_wait_alu 0xfffd
	v_add_co_ci_u32_e32 v4, vcc_lo, v43, v5, vcc_lo
	v_mov_b32_e32 v17, v9
	s_wait_loadcnt 0x2
	v_mad_co_u64_u32 v[10:11], null, s13, v20, v[6:7]
	s_delay_alu instid0(VALU_DEP_1) | instskip(NEXT) | instid1(VALU_DEP_3)
	v_mov_b32_e32 v19, v10
	v_lshlrev_b64_e32 v[9:10], 3, v[16:17]
	v_add_nc_u32_e32 v16, 0x99, v35
	s_delay_alu instid0(VALU_DEP_3) | instskip(NEXT) | instid1(VALU_DEP_2)
	v_lshlrev_b64_e32 v[11:12], 3, v[18:19]
	v_mad_co_u64_u32 v[17:18], null, s12, v16, 0
	v_add_nc_u32_e32 v15, 0x88, v35
	v_add_co_u32 v9, vcc_lo, v42, v9
	s_wait_alu 0xfffd
	v_add_co_ci_u32_e32 v10, vcc_lo, v43, v10, vcc_lo
	s_delay_alu instid0(VALU_DEP_3) | instskip(SKIP_3) | instid1(VALU_DEP_3)
	v_mad_co_u64_u32 v[13:14], null, s12, v15, 0
	v_add_co_u32 v23, vcc_lo, v42, v11
	s_wait_alu 0xfffd
	v_add_co_ci_u32_e32 v24, vcc_lo, v43, v12, vcc_lo
	v_mov_b32_e32 v5, v14
	s_delay_alu instid0(VALU_DEP_1) | instskip(SKIP_1) | instid1(VALU_DEP_1)
	v_mad_co_u64_u32 v[5:6], null, s13, v15, v[5:6]
	v_mov_b32_e32 v6, v18
	v_mad_co_u64_u32 v[18:19], null, s13, v16, v[6:7]
	s_delay_alu instid0(VALU_DEP_3)
	v_mov_b32_e32 v14, v5
	s_clause 0x3
	global_load_b64 v[19:20], v[1:2], off
	global_load_b64 v[15:16], v[3:4], off
	;; [unrolled: 1-line block ×4, first 2 shown]
	v_mov_b32_e32 v3, v30
	v_mad_co_u64_u32 v[9:10], null, s12, v32, 0
	v_lshlrev_b64_e32 v[1:2], 3, v[13:14]
	v_lshlrev_b64_e32 v[13:14], 3, v[17:18]
	s_delay_alu instid0(VALU_DEP_4) | instskip(NEXT) | instid1(VALU_DEP_4)
	v_mad_co_u64_u32 v[3:4], null, s13, v31, v[3:4]
	v_mov_b32_e32 v4, v10
	s_delay_alu instid0(VALU_DEP_4) | instskip(SKIP_2) | instid1(VALU_DEP_4)
	v_add_co_u32 v1, vcc_lo, v42, v1
	s_wait_alu 0xfffd
	v_add_co_ci_u32_e32 v2, vcc_lo, v43, v2, vcc_lo
	v_mov_b32_e32 v30, v3
	v_add_co_u32 v13, vcc_lo, v42, v13
	s_wait_alu 0xfffd
	v_add_co_ci_u32_e32 v14, vcc_lo, v43, v14, vcc_lo
	s_delay_alu instid0(VALU_DEP_3) | instskip(SKIP_1) | instid1(VALU_DEP_2)
	v_lshlrev_b64_e32 v[23:24], 3, v[29:30]
	v_mad_co_u64_u32 v[29:30], null, s12, v36, 0
	v_add_co_u32 v23, vcc_lo, v42, v23
	s_wait_alu 0xfffd
	s_delay_alu instid0(VALU_DEP_3) | instskip(SKIP_2) | instid1(VALU_DEP_1)
	v_add_co_ci_u32_e32 v24, vcc_lo, v43, v24, vcc_lo
	s_wait_loadcnt 0x0
	v_mad_co_u64_u32 v[3:4], null, s13, v32, v[4:5]
	v_dual_mov_b32 v10, v3 :: v_dual_add_nc_u32 v31, 0xcc, v35
	s_delay_alu instid0(VALU_DEP_1) | instskip(NEXT) | instid1(VALU_DEP_2)
	v_mad_co_u64_u32 v[17:18], null, s12, v31, 0
	v_lshlrev_b64_e32 v[9:10], 3, v[9:10]
	s_delay_alu instid0(VALU_DEP_2) | instskip(NEXT) | instid1(VALU_DEP_2)
	v_mov_b32_e32 v3, v18
	v_add_co_u32 v33, vcc_lo, v42, v9
	s_wait_alu 0xfffd
	s_delay_alu instid0(VALU_DEP_3) | instskip(NEXT) | instid1(VALU_DEP_3)
	v_add_co_ci_u32_e32 v34, vcc_lo, v43, v10, vcc_lo
	v_mad_co_u64_u32 v[3:4], null, s13, v31, v[3:4]
	v_dual_mov_b32 v4, v30 :: v_dual_add_nc_u32 v39, 0xee, v35
	s_delay_alu instid0(VALU_DEP_1) | instskip(NEXT) | instid1(VALU_DEP_3)
	v_mad_co_u64_u32 v[36:37], null, s13, v36, v[4:5]
	v_mov_b32_e32 v18, v3
	s_delay_alu instid0(VALU_DEP_3) | instskip(SKIP_2) | instid1(VALU_DEP_4)
	v_mad_co_u64_u32 v[31:32], null, s12, v39, 0
	v_add_nc_u32_e32 v44, 0xff, v35
	v_add_nc_u32_e32 v45, 0x110, v35
	v_lshlrev_b64_e32 v[17:18], 3, v[17:18]
	s_delay_alu instid0(VALU_DEP_4) | instskip(NEXT) | instid1(VALU_DEP_4)
	v_dual_mov_b32 v30, v36 :: v_dual_mov_b32 v3, v32
	v_mad_co_u64_u32 v[37:38], null, s12, v44, 0
	s_delay_alu instid0(VALU_DEP_2) | instskip(NEXT) | instid1(VALU_DEP_4)
	v_lshlrev_b64_e32 v[29:30], 3, v[29:30]
	v_add_co_u32 v17, vcc_lo, v42, v17
	s_delay_alu instid0(VALU_DEP_4)
	v_mad_co_u64_u32 v[39:40], null, s13, v39, v[3:4]
	v_mad_co_u64_u32 v[40:41], null, s12, v45, 0
	s_clause 0x3
	global_load_b64 v[1:2], v[1:2], off
	global_load_b64 v[3:4], v[13:14], off
	;; [unrolled: 1-line block ×4, first 2 shown]
	v_mov_b32_e32 v23, v38
	s_wait_alu 0xfffd
	v_add_co_ci_u32_e32 v18, vcc_lo, v43, v18, vcc_lo
	v_mov_b32_e32 v32, v39
	s_delay_alu instid0(VALU_DEP_3) | instskip(SKIP_1) | instid1(VALU_DEP_3)
	v_mad_co_u64_u32 v[23:24], null, s13, v44, v[23:24]
	v_mov_b32_e32 v24, v41
	v_lshlrev_b64_e32 v[31:32], 3, v[31:32]
	s_delay_alu instid0(VALU_DEP_2) | instskip(NEXT) | instid1(VALU_DEP_4)
	v_mad_co_u64_u32 v[33:34], null, s13, v45, v[24:25]
	v_mov_b32_e32 v38, v23
	v_add_co_u32 v23, vcc_lo, v42, v29
	s_wait_alu 0xfffd
	v_add_co_ci_u32_e32 v24, vcc_lo, v43, v30, vcc_lo
	s_delay_alu instid0(VALU_DEP_3) | instskip(SKIP_4) | instid1(VALU_DEP_3)
	v_lshlrev_b64_e32 v[29:30], 3, v[37:38]
	v_mov_b32_e32 v41, v33
	v_add_co_u32 v31, vcc_lo, v42, v31
	s_wait_alu 0xfffd
	v_add_co_ci_u32_e32 v32, vcc_lo, v43, v32, vcc_lo
	v_lshlrev_b64_e32 v[33:34], 3, v[40:41]
	v_add_co_u32 v36, vcc_lo, v42, v29
	s_wait_alu 0xfffd
	v_add_co_ci_u32_e32 v37, vcc_lo, v43, v30, vcc_lo
	s_delay_alu instid0(VALU_DEP_3)
	v_add_co_u32 v33, vcc_lo, v42, v33
	s_wait_alu 0xfffd
	v_add_co_ci_u32_e32 v34, vcc_lo, v43, v34, vcc_lo
	s_clause 0x4
	global_load_b64 v[17:18], v[17:18], off
	global_load_b64 v[23:24], v[23:24], off
	;; [unrolled: 1-line block ×5, first 2 shown]
.LBB0_16:
	s_wait_alu 0xfffe
	s_or_b32 exec_lo, exec_lo, s7
	v_dual_add_f32 v36, v25, v7 :: v_dual_add_f32 v37, v26, v8
	s_wait_loadcnt 0x0
	v_dual_add_f32 v38, v7, v33 :: v_dual_sub_f32 v39, v8, v34
	v_dual_sub_f32 v40, v7, v33 :: v_dual_add_f32 v41, v8, v34
	s_delay_alu instid0(VALU_DEP_3) | instskip(NEXT) | instid1(VALU_DEP_3)
	v_dual_add_f32 v36, v36, v27 :: v_dual_add_f32 v37, v37, v28
	v_mul_f32_e32 v7, 0xbeb8f4ab, v39
	s_delay_alu instid0(VALU_DEP_3) | instskip(NEXT) | instid1(VALU_DEP_3)
	v_dual_mul_f32 v42, 0xbf2c7751, v39 :: v_dual_mul_f32 v43, 0xbf2c7751, v40
	v_add_f32_e32 v8, v36, v21
	s_delay_alu instid0(VALU_DEP_4) | instskip(SKIP_1) | instid1(VALU_DEP_3)
	v_dual_add_f32 v36, v37, v22 :: v_dual_mul_f32 v37, 0xbeb8f4ab, v40
	v_dual_mul_f32 v46, 0xbf7ee86f, v39 :: v_dual_mul_f32 v47, 0xbf7ee86f, v40
	v_dual_add_f32 v8, v8, v19 :: v_dual_mul_f32 v45, 0xbf65296c, v40
	s_delay_alu instid0(VALU_DEP_3) | instskip(NEXT) | instid1(VALU_DEP_4)
	v_fma_f32 v51, 0x3f6eb680, v41, -v37
	v_dual_add_f32 v36, v36, v20 :: v_dual_fmac_f32 v37, 0x3f6eb680, v41
	s_delay_alu instid0(VALU_DEP_3) | instskip(NEXT) | instid1(VALU_DEP_4)
	v_dual_add_f32 v8, v8, v15 :: v_dual_mul_f32 v49, 0xbf763a35, v40
	v_fma_f32 v55, 0x3ee437d1, v41, -v45
	s_delay_alu instid0(VALU_DEP_3) | instskip(NEXT) | instid1(VALU_DEP_3)
	v_dual_add_f32 v36, v36, v16 :: v_dual_fmac_f32 v45, 0x3ee437d1, v41
	v_add_f32_e32 v8, v8, v11
	v_fmamk_f32 v50, v38, 0x3f6eb680, v7
	v_fma_f32 v7, 0x3f6eb680, v38, -v7
	v_fma_f32 v53, 0x3f3d2fb0, v41, -v43
	s_delay_alu instid0(VALU_DEP_4) | instskip(SKIP_3) | instid1(VALU_DEP_4)
	v_dual_add_f32 v51, v26, v51 :: v_dual_add_f32 v8, v8, v5
	v_dual_fmac_f32 v43, 0x3f3d2fb0, v41 :: v_dual_add_f32 v36, v36, v12
	v_fma_f32 v57, 0x3dbcf732, v41, -v47
	v_fmac_f32_e32 v47, 0x3dbcf732, v41
	v_add_f32_e32 v8, v8, v1
	v_add_f32_e32 v58, v25, v7
	v_dual_add_f32 v36, v36, v6 :: v_dual_add_f32 v43, v26, v43
	s_delay_alu instid0(VALU_DEP_3) | instskip(SKIP_1) | instid1(VALU_DEP_3)
	v_dual_add_f32 v45, v26, v45 :: v_dual_add_f32 v8, v8, v3
	v_dual_mul_f32 v44, 0xbf65296c, v39 :: v_dual_add_f32 v37, v26, v37
	v_add_f32_e32 v36, v36, v2
	v_fmamk_f32 v56, v38, 0x3dbcf732, v46
	s_delay_alu instid0(VALU_DEP_4) | instskip(NEXT) | instid1(VALU_DEP_4)
	v_add_f32_e32 v8, v9, v8
	v_fmamk_f32 v54, v38, 0x3ee437d1, v44
	v_fmamk_f32 v52, v38, 0x3f3d2fb0, v42
	v_fma_f32 v42, 0x3f3d2fb0, v38, -v42
	v_fma_f32 v44, 0x3ee437d1, v38, -v44
	v_add_f32_e32 v8, v13, v8
	v_fma_f32 v46, 0x3dbcf732, v38, -v46
	v_mul_f32_e32 v61, 0xbf06c442, v39
	v_sub_f32_e32 v69, v28, v32
	v_add_f32_e32 v44, v25, v44
	v_add_f32_e32 v8, v17, v8
	v_mul_f32_e32 v48, 0xbf763a35, v39
	v_fmamk_f32 v63, v38, 0xbf59a7d5, v61
	v_fma_f32 v61, 0xbf59a7d5, v38, -v61
	v_add_f32_e32 v28, v28, v32
	v_add_f32_e32 v7, v23, v8
	;; [unrolled: 1-line block ×3, first 2 shown]
	v_sub_f32_e32 v27, v27, v31
	v_add_f32_e32 v63, v25, v63
	v_add_f32_e32 v61, v25, v61
	;; [unrolled: 1-line block ×3, first 2 shown]
	s_delay_alu instid0(VALU_DEP_1) | instskip(SKIP_1) | instid1(VALU_DEP_2)
	v_dual_add_f32 v7, v31, v7 :: v_dual_add_f32 v36, v36, v4
	v_mul_f32_e32 v31, 0xbf2c7751, v69
	v_add_f32_e32 v7, v33, v7
	v_fmamk_f32 v33, v38, 0xbe8c1d8e, v48
	s_delay_alu instid0(VALU_DEP_4) | instskip(SKIP_1) | instid1(VALU_DEP_2)
	v_add_f32_e32 v36, v10, v36
	v_fma_f32 v48, 0xbe8c1d8e, v38, -v48
	v_dual_add_f32 v33, v25, v33 :: v_dual_add_f32 v36, v14, v36
	s_delay_alu instid0(VALU_DEP_2) | instskip(NEXT) | instid1(VALU_DEP_2)
	v_add_f32_e32 v48, v25, v48
	v_add_f32_e32 v36, v18, v36
	s_delay_alu instid0(VALU_DEP_1) | instskip(SKIP_3) | instid1(VALU_DEP_4)
	v_add_f32_e32 v8, v24, v36
	v_dual_add_f32 v36, v26, v53 :: v_dual_add_f32 v53, v25, v54
	v_add_f32_e32 v52, v25, v52
	v_add_f32_e32 v54, v26, v55
	;; [unrolled: 1-line block ×3, first 2 shown]
	v_dual_add_f32 v55, v25, v56 :: v_dual_add_f32 v56, v26, v57
	v_mul_f32_e32 v57, 0xbf4c4adb, v39
	v_dual_mul_f32 v39, 0xbe3c28d5, v39 :: v_dual_add_f32 v42, v25, v42
	v_mul_f32_e32 v64, 0xbf06c442, v40
	s_delay_alu instid0(VALU_DEP_3) | instskip(NEXT) | instid1(VALU_DEP_3)
	v_fmamk_f32 v59, v38, 0xbf1a4643, v57
	v_dual_fmamk_f32 v67, v38, 0xbf7ba420, v39 :: v_dual_add_f32 v8, v32, v8
	v_fma_f32 v57, 0xbf1a4643, v38, -v57
	v_fma_f32 v38, 0xbf7ba420, v38, -v39
	v_fmamk_f32 v39, v70, 0x3f3d2fb0, v31
	s_delay_alu instid0(VALU_DEP_4)
	v_dual_add_f32 v67, v25, v67 :: v_dual_add_f32 v8, v34, v8
	v_add_f32_e32 v34, v25, v46
	v_add_f32_e32 v46, v26, v47
	v_fma_f32 v47, 0xbe8c1d8e, v41, -v49
	v_dual_add_f32 v50, v25, v50 :: v_dual_fmac_f32 v49, 0xbe8c1d8e, v41
	v_add_f32_e32 v59, v25, v59
	v_add_f32_e32 v57, v25, v57
	s_delay_alu instid0(VALU_DEP_4) | instskip(NEXT) | instid1(VALU_DEP_4)
	v_dual_add_f32 v47, v26, v47 :: v_dual_mul_f32 v60, 0xbf4c4adb, v40
	v_dual_add_f32 v39, v50, v39 :: v_dual_mul_f32 v40, 0xbe3c28d5, v40
	v_add_f32_e32 v49, v26, v49
	v_fma_f32 v66, 0xbf59a7d5, v41, -v64
	s_delay_alu instid0(VALU_DEP_4)
	v_fma_f32 v62, 0xbf1a4643, v41, -v60
	v_fmac_f32_e32 v64, 0xbf59a7d5, v41
	v_fma_f32 v68, 0xbf7ba420, v41, -v40
	v_fmac_f32_e32 v40, 0xbf7ba420, v41
	v_dual_mul_f32 v32, 0xbf2c7751, v27 :: v_dual_add_f32 v25, v25, v38
	v_mul_f32_e32 v38, 0xbf7ee86f, v69
	v_fma_f32 v31, 0x3f3d2fb0, v70, -v31
	v_fmac_f32_e32 v60, 0xbf1a4643, v41
	v_add_f32_e32 v62, v26, v62
	v_add_f32_e32 v66, v26, v66
	;; [unrolled: 1-line block ×4, first 2 shown]
	v_fmamk_f32 v41, v70, 0x3dbcf732, v38
	v_mul_f32_e32 v50, 0xbf7ee86f, v27
	v_add_f32_e32 v31, v58, v31
	v_add_f32_e32 v60, v26, v60
	;; [unrolled: 1-line block ×3, first 2 shown]
	v_fma_f32 v40, 0x3f3d2fb0, v28, -v32
	v_fmac_f32_e32 v32, 0x3f3d2fb0, v28
	v_fma_f32 v38, 0x3dbcf732, v70, -v38
	s_delay_alu instid0(VALU_DEP_2) | instskip(NEXT) | instid1(VALU_DEP_4)
	v_dual_add_f32 v32, v37, v32 :: v_dual_add_f32 v37, v52, v41
	v_dual_mul_f32 v41, 0xbf4c4adb, v69 :: v_dual_add_f32 v40, v51, v40
	v_fma_f32 v51, 0x3dbcf732, v28, -v50
	v_mul_f32_e32 v52, 0xbf4c4adb, v27
	v_add_f32_e32 v38, v42, v38
	s_delay_alu instid0(VALU_DEP_4) | instskip(SKIP_2) | instid1(VALU_DEP_2)
	v_fmamk_f32 v58, v70, 0xbf1a4643, v41
	v_fma_f32 v41, 0xbf1a4643, v70, -v41
	v_dual_add_f32 v36, v36, v51 :: v_dual_mul_f32 v51, 0xbe3c28d5, v69
	v_dual_fmac_f32 v50, 0x3dbcf732, v28 :: v_dual_add_f32 v41, v44, v41
	s_delay_alu instid0(VALU_DEP_1) | instskip(SKIP_4) | instid1(VALU_DEP_2)
	v_add_f32_e32 v42, v43, v50
	v_fma_f32 v43, 0xbf1a4643, v28, -v52
	v_add_f32_e32 v50, v53, v58
	v_fmac_f32_e32 v52, 0xbf1a4643, v28
	v_mul_f32_e32 v53, 0xbe3c28d5, v27
	v_dual_add_f32 v43, v54, v43 :: v_dual_add_f32 v44, v45, v52
	v_mul_f32_e32 v45, 0x3f06c442, v69
	s_delay_alu instid0(VALU_DEP_3) | instskip(SKIP_3) | instid1(VALU_DEP_4)
	v_fma_f32 v52, 0xbf7ba420, v28, -v53
	v_fmac_f32_e32 v53, 0xbf7ba420, v28
	v_fmamk_f32 v54, v70, 0xbf7ba420, v51
	v_fma_f32 v51, 0xbf7ba420, v70, -v51
	v_add_f32_e32 v52, v56, v52
	v_mul_f32_e32 v56, 0x3f06c442, v27
	s_delay_alu instid0(VALU_DEP_4) | instskip(NEXT) | instid1(VALU_DEP_4)
	v_dual_add_f32 v54, v55, v54 :: v_dual_fmamk_f32 v55, v70, 0xbf59a7d5, v45
	v_dual_add_f32 v34, v34, v51 :: v_dual_mul_f32 v51, 0x3f763a35, v69
	v_add_f32_e32 v46, v46, v53
	s_delay_alu instid0(VALU_DEP_4) | instskip(NEXT) | instid1(VALU_DEP_4)
	v_fma_f32 v53, 0xbf59a7d5, v28, -v56
	v_add_f32_e32 v33, v33, v55
	v_fma_f32 v45, 0xbf59a7d5, v70, -v45
	v_fmac_f32_e32 v56, 0xbf59a7d5, v28
	v_mul_f32_e32 v55, 0x3f763a35, v27
	v_fmamk_f32 v58, v70, 0xbe8c1d8e, v51
	v_fma_f32 v51, 0xbe8c1d8e, v70, -v51
	v_add_f32_e32 v47, v47, v53
	v_dual_add_f32 v45, v48, v45 :: v_dual_add_f32 v48, v49, v56
	v_fma_f32 v49, 0xbe8c1d8e, v28, -v55
	v_add_f32_e32 v53, v59, v58
	v_fmac_f32_e32 v55, 0xbe8c1d8e, v28
	v_mul_f32_e32 v58, 0x3f65296c, v27
	v_add_f32_e32 v51, v57, v51
	v_mul_f32_e32 v57, 0x3eb8f4ab, v69
	v_mul_f32_e32 v56, 0x3f65296c, v69
	v_add_f32_e32 v49, v62, v49
	v_add_f32_e32 v55, v60, v55
	v_fma_f32 v60, 0x3ee437d1, v28, -v58
	v_fmac_f32_e32 v58, 0x3ee437d1, v28
	v_fmamk_f32 v59, v70, 0x3ee437d1, v56
	v_fma_f32 v56, 0x3ee437d1, v70, -v56
	v_fmamk_f32 v62, v70, 0x3f6eb680, v57
	s_delay_alu instid0(VALU_DEP_4) | instskip(SKIP_1) | instid1(VALU_DEP_3)
	v_dual_mul_f32 v27, 0x3eb8f4ab, v27 :: v_dual_add_f32 v58, v64, v58
	v_sub_f32_e32 v64, v21, v29
	v_dual_add_f32 v56, v61, v56 :: v_dual_add_f32 v61, v67, v62
	v_dual_sub_f32 v62, v22, v30 :: v_dual_add_f32 v59, v63, v59
	s_delay_alu instid0(VALU_DEP_4) | instskip(SKIP_2) | instid1(VALU_DEP_4)
	v_fma_f32 v63, 0x3f6eb680, v28, -v27
	v_fma_f32 v57, 0x3f6eb680, v70, -v57
	v_add_f32_e32 v21, v21, v29
	v_mul_f32_e32 v29, 0xbf65296c, v62
	v_dual_fmac_f32 v27, 0x3f6eb680, v28 :: v_dual_add_f32 v22, v22, v30
	v_mul_f32_e32 v28, 0xbf65296c, v64
	s_delay_alu instid0(VALU_DEP_3) | instskip(NEXT) | instid1(VALU_DEP_3)
	v_dual_add_f32 v30, v68, v63 :: v_dual_fmamk_f32 v63, v21, 0x3ee437d1, v29
	v_dual_add_f32 v25, v25, v57 :: v_dual_add_f32 v26, v26, v27
	s_delay_alu instid0(VALU_DEP_3) | instskip(SKIP_3) | instid1(VALU_DEP_3)
	v_fma_f32 v27, 0x3ee437d1, v22, -v28
	v_mul_f32_e32 v57, 0xbf4c4adb, v62
	v_fma_f32 v29, 0x3ee437d1, v21, -v29
	v_dual_add_f32 v39, v39, v63 :: v_dual_fmac_f32 v28, 0x3ee437d1, v22
	v_dual_add_f32 v27, v40, v27 :: v_dual_fmamk_f32 v40, v21, 0xbf1a4643, v57
	v_mul_f32_e32 v63, 0xbf4c4adb, v64
	s_delay_alu instid0(VALU_DEP_4)
	v_add_f32_e32 v29, v31, v29
	v_dual_mul_f32 v31, 0x3e3c28d5, v62 :: v_dual_add_f32 v60, v66, v60
	v_add_f32_e32 v28, v32, v28
	v_add_f32_e32 v32, v37, v40
	v_fma_f32 v37, 0xbf1a4643, v22, -v63
	v_fma_f32 v40, 0xbf1a4643, v21, -v57
	v_fmac_f32_e32 v63, 0xbf1a4643, v22
	v_fmamk_f32 v57, v21, 0xbf7ba420, v31
	v_mul_f32_e32 v66, 0x3e3c28d5, v64
	s_delay_alu instid0(VALU_DEP_4) | instskip(NEXT) | instid1(VALU_DEP_4)
	v_dual_add_f32 v36, v36, v37 :: v_dual_add_f32 v37, v38, v40
	v_add_f32_e32 v38, v42, v63
	s_delay_alu instid0(VALU_DEP_4) | instskip(NEXT) | instid1(VALU_DEP_4)
	v_add_f32_e32 v40, v50, v57
	v_fma_f32 v42, 0xbf7ba420, v22, -v66
	v_fma_f32 v31, 0xbf7ba420, v21, -v31
	v_fmac_f32_e32 v66, 0xbf7ba420, v22
	v_dual_mul_f32 v57, 0x3f763a35, v64 :: v_dual_mul_f32 v50, 0x3f763a35, v62
	v_mul_f32_e32 v63, 0x3f2c7751, v62
	s_delay_alu instid0(VALU_DEP_4) | instskip(NEXT) | instid1(VALU_DEP_4)
	v_add_f32_e32 v31, v41, v31
	v_add_f32_e32 v41, v44, v66
	s_delay_alu instid0(VALU_DEP_4) | instskip(SKIP_3) | instid1(VALU_DEP_4)
	v_fma_f32 v44, 0xbe8c1d8e, v22, -v57
	v_fmac_f32_e32 v57, 0xbe8c1d8e, v22
	v_dual_add_f32 v42, v43, v42 :: v_dual_fmamk_f32 v43, v21, 0xbe8c1d8e, v50
	v_fma_f32 v50, 0xbe8c1d8e, v21, -v50
	v_add_f32_e32 v44, v52, v44
	s_delay_alu instid0(VALU_DEP_4) | instskip(SKIP_3) | instid1(VALU_DEP_3)
	v_add_f32_e32 v46, v46, v57
	v_fma_f32 v57, 0x3f3d2fb0, v21, -v63
	v_dual_add_f32 v43, v54, v43 :: v_dual_mul_f32 v54, 0x3f2c7751, v64
	v_add_f32_e32 v34, v34, v50
	v_dual_mul_f32 v50, 0xbeb8f4ab, v62 :: v_dual_add_f32 v45, v45, v57
	v_mul_f32_e32 v57, 0xbf7ee86f, v64
	v_fmamk_f32 v52, v21, 0x3f3d2fb0, v63
	v_mul_f32_e32 v66, 0xbeb8f4ab, v64
	s_delay_alu instid0(VALU_DEP_4) | instskip(SKIP_1) | instid1(VALU_DEP_4)
	v_fmamk_f32 v63, v21, 0x3f6eb680, v50
	v_fma_f32 v50, 0x3f6eb680, v21, -v50
	v_add_f32_e32 v33, v33, v52
	v_fma_f32 v52, 0x3f3d2fb0, v22, -v54
	s_delay_alu instid0(VALU_DEP_1) | instskip(NEXT) | instid1(VALU_DEP_1)
	v_dual_fmac_f32 v54, 0x3f3d2fb0, v22 :: v_dual_add_f32 v47, v47, v52
	v_add_f32_e32 v48, v48, v54
	v_add_f32_e32 v52, v53, v63
	v_fma_f32 v53, 0x3f6eb680, v22, -v66
	v_mul_f32_e32 v54, 0xbf7ee86f, v62
	s_delay_alu instid0(VALU_DEP_2) | instskip(NEXT) | instid1(VALU_DEP_2)
	v_dual_mul_f32 v62, 0xbf06c442, v62 :: v_dual_add_f32 v49, v49, v53
	v_fmamk_f32 v53, v21, 0x3dbcf732, v54
	v_fma_f32 v54, 0x3dbcf732, v21, -v54
	s_delay_alu instid0(VALU_DEP_2) | instskip(NEXT) | instid1(VALU_DEP_2)
	v_add_f32_e32 v53, v59, v53
	v_dual_fmamk_f32 v59, v21, 0xbf59a7d5, v62 :: v_dual_add_f32 v54, v56, v54
	v_sub_f32_e32 v56, v20, v24
	v_add_f32_e32 v20, v20, v24
	v_add_f32_e32 v50, v51, v50
	v_fma_f32 v51, 0x3dbcf732, v22, -v57
	v_fmac_f32_e32 v57, 0x3dbcf732, v22
	v_fma_f32 v21, 0xbf59a7d5, v21, -v62
	v_mul_f32_e32 v63, 0xbf7ee86f, v56
	s_delay_alu instid0(VALU_DEP_4) | instskip(NEXT) | instid1(VALU_DEP_4)
	v_add_f32_e32 v51, v60, v51
	v_dual_add_f32 v57, v58, v57 :: v_dual_add_f32 v58, v61, v59
	v_add_f32_e32 v61, v19, v23
	v_sub_f32_e32 v19, v19, v23
	v_add_f32_e32 v21, v25, v21
	s_delay_alu instid0(VALU_DEP_2) | instskip(SKIP_1) | instid1(VALU_DEP_1)
	v_mul_f32_e32 v23, 0xbf7ee86f, v19
	v_mul_f32_e32 v60, 0xbf06c442, v64
	v_fma_f32 v59, 0xbf59a7d5, v22, -v60
	v_fmac_f32_e32 v60, 0xbf59a7d5, v22
	s_delay_alu instid0(VALU_DEP_2) | instskip(NEXT) | instid1(VALU_DEP_2)
	v_add_f32_e32 v24, v30, v59
	v_add_f32_e32 v25, v26, v60
	v_fma_f32 v26, 0x3dbcf732, v20, -v23
	v_mul_f32_e32 v30, 0xbe3c28d5, v56
	v_fmac_f32_e32 v23, 0x3dbcf732, v20
	v_mul_f32_e32 v59, 0xbe3c28d5, v19
	v_mul_f32_e32 v60, 0x3eb8f4ab, v19
	s_delay_alu instid0(VALU_DEP_4) | instskip(NEXT) | instid1(VALU_DEP_4)
	v_dual_add_f32 v26, v27, v26 :: v_dual_fmamk_f32 v27, v61, 0xbf7ba420, v30
	v_add_f32_e32 v23, v28, v23
	s_delay_alu instid0(VALU_DEP_4)
	v_fma_f32 v28, 0xbf7ba420, v20, -v59
	v_fma_f32 v30, 0xbf7ba420, v61, -v30
	v_fmac_f32_e32 v59, 0xbf7ba420, v20
	v_dual_add_f32 v27, v32, v27 :: v_dual_fmac_f32 v66, 0x3f6eb680, v22
	v_fmamk_f32 v22, v61, 0x3dbcf732, v63
	v_add_f32_e32 v28, v36, v28
	v_mul_f32_e32 v36, 0x3f763a35, v19
	v_dual_add_f32 v30, v37, v30 :: v_dual_add_f32 v37, v38, v59
	s_delay_alu instid0(VALU_DEP_4) | instskip(SKIP_1) | instid1(VALU_DEP_1)
	v_add_f32_e32 v22, v39, v22
	v_fma_f32 v39, 0x3dbcf732, v61, -v63
	v_dual_mul_f32 v38, 0x3eb8f4ab, v56 :: v_dual_add_f32 v29, v29, v39
	v_mul_f32_e32 v39, 0x3f763a35, v56
	s_delay_alu instid0(VALU_DEP_2) | instskip(SKIP_1) | instid1(VALU_DEP_3)
	v_fmamk_f32 v59, v61, 0x3f6eb680, v38
	v_fma_f32 v38, 0x3f6eb680, v61, -v38
	v_fmamk_f32 v32, v61, 0xbe8c1d8e, v39
	v_fma_f32 v39, 0xbe8c1d8e, v61, -v39
	s_delay_alu instid0(VALU_DEP_3) | instskip(NEXT) | instid1(VALU_DEP_3)
	v_add_f32_e32 v34, v34, v38
	v_add_f32_e32 v32, v40, v32
	v_fma_f32 v40, 0xbe8c1d8e, v20, -v36
	s_delay_alu instid0(VALU_DEP_4) | instskip(SKIP_1) | instid1(VALU_DEP_3)
	v_dual_fmac_f32 v36, 0xbe8c1d8e, v20 :: v_dual_add_f32 v31, v31, v39
	v_add_f32_e32 v39, v43, v59
	v_dual_mul_f32 v43, 0xbf65296c, v19 :: v_dual_add_f32 v40, v42, v40
	s_delay_alu instid0(VALU_DEP_3) | instskip(SKIP_4) | instid1(VALU_DEP_3)
	v_add_f32_e32 v36, v41, v36
	v_fma_f32 v41, 0x3f6eb680, v20, -v60
	v_mul_f32_e32 v42, 0xbf65296c, v56
	v_dual_fmac_f32 v60, 0x3f6eb680, v20 :: v_dual_add_f32 v55, v55, v66
	v_mul_f32_e32 v59, 0xbf06c442, v56
	v_dual_add_f32 v41, v44, v41 :: v_dual_fmamk_f32 v44, v61, 0x3ee437d1, v42
	s_delay_alu instid0(VALU_DEP_3) | instskip(SKIP_1) | instid1(VALU_DEP_3)
	v_add_f32_e32 v38, v46, v60
	v_fma_f32 v46, 0x3ee437d1, v20, -v43
	v_dual_mul_f32 v60, 0x3f4c4adb, v19 :: v_dual_add_f32 v33, v33, v44
	s_delay_alu instid0(VALU_DEP_2) | instskip(SKIP_2) | instid1(VALU_DEP_2)
	v_dual_add_f32 v44, v47, v46 :: v_dual_mul_f32 v47, 0xbf06c442, v19
	v_fmac_f32_e32 v43, 0x3ee437d1, v20
	v_mul_f32_e32 v19, 0x3f2c7751, v19
	v_dual_fmamk_f32 v46, v61, 0xbf59a7d5, v59 :: v_dual_add_f32 v43, v48, v43
	s_delay_alu instid0(VALU_DEP_4) | instskip(NEXT) | instid1(VALU_DEP_2)
	v_fma_f32 v48, 0xbf59a7d5, v20, -v47
	v_dual_fmac_f32 v47, 0xbf59a7d5, v20 :: v_dual_add_f32 v46, v52, v46
	v_fma_f32 v52, 0xbf59a7d5, v61, -v59
	s_delay_alu instid0(VALU_DEP_2) | instskip(SKIP_1) | instid1(VALU_DEP_1)
	v_add_f32_e32 v47, v55, v47
	v_fma_f32 v55, 0x3f3d2fb0, v20, -v19
	v_dual_fmac_f32 v19, 0x3f3d2fb0, v20 :: v_dual_add_f32 v24, v24, v55
	s_delay_alu instid0(VALU_DEP_1) | instskip(SKIP_3) | instid1(VALU_DEP_3)
	v_add_f32_e32 v19, v25, v19
	v_fma_f32 v42, 0x3ee437d1, v61, -v42
	v_dual_add_f32 v55, v15, v17 :: v_dual_add_f32 v48, v49, v48
	v_add_f32_e32 v49, v50, v52
	v_dual_sub_f32 v15, v15, v17 :: v_dual_add_f32 v42, v45, v42
	v_mul_f32_e32 v45, 0x3f4c4adb, v56
	v_fma_f32 v52, 0xbf1a4643, v20, -v60
	s_delay_alu instid0(VALU_DEP_2) | instskip(NEXT) | instid1(VALU_DEP_2)
	v_dual_fmac_f32 v60, 0xbf1a4643, v20 :: v_dual_fmamk_f32 v59, v61, 0xbf1a4643, v45
	v_add_f32_e32 v51, v51, v52
	v_fma_f32 v45, 0xbf1a4643, v61, -v45
	s_delay_alu instid0(VALU_DEP_3) | instskip(SKIP_1) | instid1(VALU_DEP_3)
	v_dual_add_f32 v50, v53, v59 :: v_dual_mul_f32 v53, 0x3f2c7751, v56
	v_sub_f32_e32 v56, v16, v18
	v_dual_add_f32 v16, v16, v18 :: v_dual_add_f32 v45, v54, v45
	s_delay_alu instid0(VALU_DEP_3) | instskip(NEXT) | instid1(VALU_DEP_3)
	v_fmamk_f32 v52, v61, 0x3f3d2fb0, v53
	v_mul_f32_e32 v17, 0xbf763a35, v56
	v_fma_f32 v53, 0x3f3d2fb0, v61, -v53
	v_mul_f32_e32 v25, 0x3f06c442, v56
	s_delay_alu instid0(VALU_DEP_3) | instskip(SKIP_1) | instid1(VALU_DEP_2)
	v_fmamk_f32 v20, v55, 0xbe8c1d8e, v17
	v_fma_f32 v17, 0xbe8c1d8e, v55, -v17
	v_dual_add_f32 v21, v21, v53 :: v_dual_add_f32 v20, v22, v20
	s_delay_alu instid0(VALU_DEP_2) | instskip(SKIP_4) | instid1(VALU_DEP_3)
	v_add_f32_e32 v17, v29, v17
	v_mul_f32_e32 v29, 0x3f2c7751, v15
	v_mul_f32_e32 v18, 0xbf763a35, v15
	v_fmamk_f32 v22, v55, 0xbf59a7d5, v25
	v_fma_f32 v25, 0xbf59a7d5, v55, -v25
	v_fma_f32 v53, 0xbe8c1d8e, v16, -v18
	v_fmac_f32_e32 v18, 0xbe8c1d8e, v16
	s_delay_alu instid0(VALU_DEP_3) | instskip(SKIP_1) | instid1(VALU_DEP_4)
	v_dual_add_f32 v22, v27, v22 :: v_dual_add_f32 v25, v30, v25
	v_fma_f32 v30, 0x3f3d2fb0, v16, -v29
	v_dual_add_f32 v26, v26, v53 :: v_dual_mul_f32 v53, 0x3f06c442, v15
	s_delay_alu instid0(VALU_DEP_4) | instskip(NEXT) | instid1(VALU_DEP_3)
	v_dual_add_f32 v18, v23, v18 :: v_dual_fmac_f32 v29, 0x3f3d2fb0, v16
	v_dual_mul_f32 v23, 0x3f2c7751, v56 :: v_dual_add_f32 v30, v40, v30
	s_delay_alu instid0(VALU_DEP_3) | instskip(SKIP_1) | instid1(VALU_DEP_4)
	v_fma_f32 v27, 0xbf59a7d5, v16, -v53
	v_fmac_f32_e32 v53, 0xbf59a7d5, v16
	v_add_f32_e32 v29, v36, v29
	s_delay_alu instid0(VALU_DEP_2) | instskip(SKIP_3) | instid1(VALU_DEP_3)
	v_dual_add_f32 v27, v28, v27 :: v_dual_add_f32 v28, v37, v53
	v_mul_f32_e32 v37, 0xbf65296c, v56
	v_dual_add_f32 v54, v57, v60 :: v_dual_fmamk_f32 v57, v55, 0x3f3d2fb0, v23
	v_fma_f32 v23, 0x3f3d2fb0, v55, -v23
	v_fmamk_f32 v53, v55, 0x3ee437d1, v37
	v_fma_f32 v37, 0x3ee437d1, v55, -v37
	s_delay_alu instid0(VALU_DEP_3) | instskip(SKIP_1) | instid1(VALU_DEP_4)
	v_dual_add_f32 v32, v32, v57 :: v_dual_add_f32 v23, v31, v23
	v_mul_f32_e32 v31, 0xbe3c28d5, v56
	v_dual_add_f32 v39, v39, v53 :: v_dual_add_f32 v52, v58, v52
	s_delay_alu instid0(VALU_DEP_2) | instskip(SKIP_1) | instid1(VALU_DEP_2)
	v_dual_add_f32 v34, v34, v37 :: v_dual_fmamk_f32 v53, v55, 0xbf7ba420, v31
	v_fma_f32 v31, 0xbf7ba420, v55, -v31
	v_add_f32_e32 v33, v33, v53
	v_mul_f32_e32 v53, 0x3f7ee86f, v15
	s_delay_alu instid0(VALU_DEP_3) | instskip(NEXT) | instid1(VALU_DEP_2)
	v_add_f32_e32 v31, v42, v31
	v_fma_f32 v42, 0x3dbcf732, v16, -v53
	v_fmac_f32_e32 v53, 0x3dbcf732, v16
	s_delay_alu instid0(VALU_DEP_1) | instskip(NEXT) | instid1(VALU_DEP_1)
	v_dual_mul_f32 v40, 0xbf65296c, v15 :: v_dual_add_f32 v47, v47, v53
	v_fma_f32 v36, 0x3ee437d1, v16, -v40
	v_fmac_f32_e32 v40, 0x3ee437d1, v16
	s_delay_alu instid0(VALU_DEP_2) | instskip(NEXT) | instid1(VALU_DEP_2)
	v_dual_add_f32 v36, v41, v36 :: v_dual_mul_f32 v41, 0xbe3c28d5, v15
	v_add_f32_e32 v37, v38, v40
	v_mul_f32_e32 v38, 0x3f7ee86f, v56
	s_delay_alu instid0(VALU_DEP_3) | instskip(SKIP_1) | instid1(VALU_DEP_2)
	v_fma_f32 v40, 0xbf7ba420, v16, -v41
	v_fmac_f32_e32 v41, 0xbf7ba420, v16
	v_dual_fmamk_f32 v57, v55, 0x3dbcf732, v38 :: v_dual_add_f32 v40, v44, v40
	s_delay_alu instid0(VALU_DEP_2) | instskip(NEXT) | instid1(VALU_DEP_2)
	v_add_f32_e32 v41, v43, v41
	v_dual_add_f32 v43, v46, v57 :: v_dual_mul_f32 v46, 0xbeb8f4ab, v15
	v_mul_f32_e32 v44, 0xbeb8f4ab, v56
	v_dual_mul_f32 v15, 0xbf4c4adb, v15 :: v_dual_add_f32 v42, v48, v42
	s_delay_alu instid0(VALU_DEP_3) | instskip(NEXT) | instid1(VALU_DEP_1)
	v_fma_f32 v53, 0x3f6eb680, v16, -v46
	v_dual_fmac_f32 v46, 0x3f6eb680, v16 :: v_dual_add_f32 v51, v51, v53
	v_sub_f32_e32 v53, v11, v13
	v_add_f32_e32 v11, v11, v13
	v_fmamk_f32 v48, v55, 0x3f6eb680, v44
	v_fma_f32 v44, 0x3f6eb680, v55, -v44
	s_delay_alu instid0(VALU_DEP_2) | instskip(NEXT) | instid1(VALU_DEP_2)
	v_add_f32_e32 v48, v50, v48
	v_dual_add_f32 v44, v45, v44 :: v_dual_add_f32 v45, v54, v46
	v_fma_f32 v38, 0x3dbcf732, v55, -v38
	s_delay_alu instid0(VALU_DEP_1) | instskip(NEXT) | instid1(VALU_DEP_1)
	v_dual_add_f32 v38, v49, v38 :: v_dual_mul_f32 v49, 0xbf4c4adb, v56
	v_fmamk_f32 v50, v55, 0xbf1a4643, v49
	v_fma_f32 v49, 0xbf1a4643, v55, -v49
	s_delay_alu instid0(VALU_DEP_2) | instskip(SKIP_3) | instid1(VALU_DEP_3)
	v_add_f32_e32 v46, v52, v50
	v_sub_f32_e32 v50, v12, v14
	v_fma_f32 v52, 0xbf1a4643, v16, -v15
	v_dual_fmac_f32 v15, 0xbf1a4643, v16 :: v_dual_add_f32 v12, v12, v14
	v_dual_mul_f32 v14, 0xbf4c4adb, v53 :: v_dual_mul_f32 v13, 0xbf4c4adb, v50
	s_delay_alu instid0(VALU_DEP_3) | instskip(NEXT) | instid1(VALU_DEP_3)
	v_dual_add_f32 v16, v24, v52 :: v_dual_add_f32 v21, v21, v49
	v_add_f32_e32 v15, v19, v15
	s_delay_alu instid0(VALU_DEP_3) | instskip(NEXT) | instid1(VALU_DEP_4)
	v_fma_f32 v19, 0xbf1a4643, v12, -v14
	v_fmamk_f32 v24, v11, 0xbf1a4643, v13
	v_mul_f32_e32 v49, 0x3f763a35, v50
	v_fmac_f32_e32 v14, 0xbf1a4643, v12
	s_delay_alu instid0(VALU_DEP_4) | instskip(NEXT) | instid1(VALU_DEP_4)
	v_dual_mul_f32 v52, 0xbeb8f4ab, v53 :: v_dual_add_f32 v19, v26, v19
	v_add_f32_e32 v20, v20, v24
	s_delay_alu instid0(VALU_DEP_4) | instskip(SKIP_3) | instid1(VALU_DEP_4)
	v_fmamk_f32 v24, v11, 0xbe8c1d8e, v49
	v_mul_f32_e32 v26, 0x3f763a35, v53
	v_add_f32_e32 v14, v18, v14
	v_fma_f32 v13, 0xbf1a4643, v11, -v13
	v_add_f32_e32 v18, v22, v24
	s_delay_alu instid0(VALU_DEP_4) | instskip(SKIP_1) | instid1(VALU_DEP_2)
	v_fma_f32 v22, 0xbe8c1d8e, v12, -v26
	v_fma_f32 v24, 0xbe8c1d8e, v11, -v49
	v_dual_add_f32 v13, v17, v13 :: v_dual_add_f32 v22, v27, v22
	v_fma_f32 v27, 0x3f6eb680, v12, -v52
	s_delay_alu instid0(VALU_DEP_1) | instskip(NEXT) | instid1(VALU_DEP_4)
	v_add_f32_e32 v27, v30, v27
	v_dual_mul_f32 v17, 0xbeb8f4ab, v50 :: v_dual_add_f32 v24, v25, v24
	s_delay_alu instid0(VALU_DEP_1) | instskip(SKIP_1) | instid1(VALU_DEP_1)
	v_fmamk_f32 v49, v11, 0x3f6eb680, v17
	v_fma_f32 v17, 0x3f6eb680, v11, -v17
	v_dual_add_f32 v17, v23, v17 :: v_dual_fmac_f32 v26, 0xbe8c1d8e, v12
	s_delay_alu instid0(VALU_DEP_1) | instskip(NEXT) | instid1(VALU_DEP_4)
	v_dual_fmac_f32 v52, 0x3f6eb680, v12 :: v_dual_add_f32 v25, v28, v26
	v_add_f32_e32 v26, v32, v49
	v_mul_f32_e32 v28, 0xbf06c442, v50
	s_delay_alu instid0(VALU_DEP_3) | instskip(SKIP_1) | instid1(VALU_DEP_3)
	v_dual_mul_f32 v32, 0xbf06c442, v53 :: v_dual_add_f32 v23, v29, v52
	v_mul_f32_e32 v49, 0x3f7ee86f, v50
	v_fmamk_f32 v30, v11, 0xbf59a7d5, v28
	s_delay_alu instid0(VALU_DEP_3) | instskip(SKIP_1) | instid1(VALU_DEP_2)
	v_fma_f32 v29, 0xbf59a7d5, v12, -v32
	v_fmac_f32_e32 v32, 0xbf59a7d5, v12
	v_dual_add_f32 v30, v39, v30 :: v_dual_add_f32 v29, v36, v29
	v_fmamk_f32 v36, v11, 0x3dbcf732, v49
	s_delay_alu instid0(VALU_DEP_3) | instskip(SKIP_1) | instid1(VALU_DEP_3)
	v_dual_mul_f32 v39, 0x3f7ee86f, v53 :: v_dual_add_f32 v32, v37, v32
	v_fma_f32 v37, 0x3dbcf732, v11, -v49
	v_add_f32_e32 v33, v33, v36
	s_delay_alu instid0(VALU_DEP_3) | instskip(SKIP_1) | instid1(VALU_DEP_2)
	v_fma_f32 v36, 0x3dbcf732, v12, -v39
	v_fmac_f32_e32 v39, 0x3dbcf732, v12
	v_dual_add_f32 v31, v31, v37 :: v_dual_add_f32 v36, v40, v36
	s_delay_alu instid0(VALU_DEP_2) | instskip(SKIP_2) | instid1(VALU_DEP_1)
	v_add_f32_e32 v37, v41, v39
	v_mul_f32_e32 v41, 0xbe3c28d5, v50
	v_mul_f32_e32 v52, 0xbf2c7751, v53
	v_fma_f32 v40, 0x3f3d2fb0, v12, -v52
	v_fmac_f32_e32 v52, 0x3f3d2fb0, v12
	s_delay_alu instid0(VALU_DEP_2) | instskip(SKIP_2) | instid1(VALU_DEP_1)
	v_add_f32_e32 v40, v42, v40
	v_fmamk_f32 v42, v11, 0xbf7ba420, v41
	v_fma_f32 v41, 0xbf7ba420, v11, -v41
	v_add_f32_e32 v41, v44, v41
	v_fma_f32 v28, 0xbf59a7d5, v11, -v28
	v_sub_f32_e32 v44, v6, v10
	v_add_f32_e32 v42, v48, v42
	s_delay_alu instid0(VALU_DEP_3) | instskip(SKIP_1) | instid1(VALU_DEP_1)
	v_add_f32_e32 v28, v34, v28
	v_mul_f32_e32 v34, 0xbf2c7751, v50
	v_fmamk_f32 v49, v11, 0x3f3d2fb0, v34
	v_fma_f32 v34, 0x3f3d2fb0, v11, -v34
	s_delay_alu instid0(VALU_DEP_2) | instskip(SKIP_2) | instid1(VALU_DEP_4)
	v_add_f32_e32 v39, v43, v49
	v_mul_f32_e32 v43, 0xbe3c28d5, v53
	v_mul_f32_e32 v49, 0x3f65296c, v50
	v_add_f32_e32 v34, v38, v34
	v_mul_f32_e32 v50, 0x3f65296c, v53
	s_delay_alu instid0(VALU_DEP_4) | instskip(SKIP_1) | instid1(VALU_DEP_1)
	v_fma_f32 v38, 0xbf7ba420, v12, -v43
	v_fmac_f32_e32 v43, 0xbf7ba420, v12
	v_dual_fmamk_f32 v48, v11, 0x3ee437d1, v49 :: v_dual_add_f32 v43, v45, v43
	s_delay_alu instid0(VALU_DEP_1)
	v_dual_add_f32 v45, v46, v48 :: v_dual_add_f32 v48, v5, v9
	v_sub_f32_e32 v5, v5, v9
	v_fma_f32 v9, 0x3ee437d1, v11, -v49
	v_fma_f32 v46, 0x3ee437d1, v12, -v50
	v_add_f32_e32 v6, v6, v10
	v_fmac_f32_e32 v50, 0x3ee437d1, v12
	v_dual_mul_f32 v49, 0x3f4c4adb, v5 :: v_dual_add_f32 v38, v51, v38
	v_mul_f32_e32 v51, 0xbf06c442, v44
	v_dual_mul_f32 v11, 0xbf06c442, v5 :: v_dual_add_f32 v12, v16, v46
	v_add_f32_e32 v9, v21, v9
	v_mul_f32_e32 v46, 0x3f65296c, v5
	s_delay_alu instid0(VALU_DEP_4) | instskip(NEXT) | instid1(VALU_DEP_4)
	v_fmamk_f32 v10, v48, 0xbf59a7d5, v51
	v_fma_f32 v16, 0xbf59a7d5, v6, -v11
	v_fma_f32 v21, 0xbf59a7d5, v48, -v51
	v_fmac_f32_e32 v11, 0xbf59a7d5, v6
	s_delay_alu instid0(VALU_DEP_4) | instskip(SKIP_1) | instid1(VALU_DEP_4)
	v_add_f32_e32 v10, v20, v10
	v_mul_f32_e32 v20, 0x3f65296c, v44
	v_dual_add_f32 v16, v19, v16 :: v_dual_add_f32 v13, v13, v21
	s_delay_alu instid0(VALU_DEP_4) | instskip(SKIP_1) | instid1(VALU_DEP_4)
	v_add_f32_e32 v11, v14, v11
	v_fma_f32 v14, 0x3ee437d1, v6, -v46
	v_fmamk_f32 v19, v48, 0x3ee437d1, v20
	s_delay_alu instid0(VALU_DEP_2) | instskip(NEXT) | instid1(VALU_DEP_2)
	v_dual_mul_f32 v21, 0xbf7ee86f, v44 :: v_dual_add_f32 v14, v22, v14
	v_add_f32_e32 v18, v18, v19
	v_fma_f32 v19, 0x3ee437d1, v48, -v20
	s_delay_alu instid0(VALU_DEP_3) | instskip(SKIP_2) | instid1(VALU_DEP_4)
	v_fmamk_f32 v20, v48, 0x3dbcf732, v21
	v_mul_f32_e32 v22, 0xbf7ee86f, v5
	v_fma_f32 v21, 0x3dbcf732, v48, -v21
	v_add_f32_e32 v19, v24, v19
	s_delay_alu instid0(VALU_DEP_2) | instskip(SKIP_4) | instid1(VALU_DEP_2)
	v_add_f32_e32 v17, v17, v21
	v_add_f32_e32 v47, v47, v52
	;; [unrolled: 1-line block ×3, first 2 shown]
	v_fma_f32 v26, 0x3dbcf732, v6, -v22
	v_fmac_f32_e32 v22, 0x3dbcf732, v6
	v_add_f32_e32 v26, v27, v26
	s_delay_alu instid0(VALU_DEP_2) | instskip(SKIP_2) | instid1(VALU_DEP_2)
	v_add_f32_e32 v21, v23, v22
	v_fma_f32 v23, 0xbf1a4643, v6, -v49
	v_mul_f32_e32 v27, 0xbeb8f4ab, v44
	v_add_f32_e32 v23, v29, v23
	s_delay_alu instid0(VALU_DEP_2) | instskip(SKIP_3) | instid1(VALU_DEP_4)
	v_fmamk_f32 v29, v48, 0x3f6eb680, v27
	v_fmac_f32_e32 v46, 0x3ee437d1, v6
	v_fmac_f32_e32 v49, 0xbf1a4643, v6
	v_fma_f32 v27, 0x3f6eb680, v48, -v27
	v_add_f32_e32 v29, v33, v29
	s_delay_alu instid0(VALU_DEP_4) | instskip(NEXT) | instid1(VALU_DEP_3)
	v_dual_add_f32 v24, v25, v46 :: v_dual_mul_f32 v25, 0x3f4c4adb, v44
	v_add_f32_e32 v27, v31, v27
	v_mul_f32_e32 v31, 0x3f2c7751, v44
	s_delay_alu instid0(VALU_DEP_3) | instskip(SKIP_1) | instid1(VALU_DEP_2)
	v_dual_add_f32 v15, v15, v50 :: v_dual_fmamk_f32 v46, v48, 0xbf1a4643, v25
	v_fma_f32 v25, 0xbf1a4643, v48, -v25
	v_add_f32_e32 v22, v30, v46
	s_delay_alu instid0(VALU_DEP_2) | instskip(SKIP_2) | instid1(VALU_DEP_3)
	v_dual_mul_f32 v46, 0xbe3c28d5, v44 :: v_dual_add_f32 v25, v28, v25
	v_add_f32_e32 v28, v32, v49
	v_mul_f32_e32 v49, 0x3f2c7751, v5
	v_fmamk_f32 v33, v48, 0xbf7ba420, v46
	s_delay_alu instid0(VALU_DEP_1) | instskip(SKIP_4) | instid1(VALU_DEP_4)
	v_add_f32_e32 v33, v39, v33
	v_mul_f32_e32 v30, 0xbeb8f4ab, v5
	v_fma_f32 v39, 0xbf7ba420, v48, -v46
	v_fmamk_f32 v46, v48, 0x3f3d2fb0, v31
	v_fma_f32 v31, 0x3f3d2fb0, v48, -v31
	v_fma_f32 v32, 0x3f6eb680, v6, -v30
	v_fmac_f32_e32 v30, 0x3f6eb680, v6
	v_add_f32_e32 v34, v34, v39
	v_dual_add_f32 v39, v42, v46 :: v_dual_mul_f32 v42, 0xbf763a35, v44
	s_delay_alu instid0(VALU_DEP_4) | instskip(SKIP_4) | instid1(VALU_DEP_4)
	v_add_f32_e32 v32, v36, v32
	v_mul_f32_e32 v36, 0xbe3c28d5, v5
	v_dual_add_f32 v30, v37, v30 :: v_dual_mul_f32 v5, 0xbf763a35, v5
	v_add_f32_e32 v31, v41, v31
	v_sub_f32_e32 v46, v1, v3
	v_fma_f32 v37, 0xbf7ba420, v6, -v36
	v_fmac_f32_e32 v36, 0xbf7ba420, v6
	v_fma_f32 v44, 0xbe8c1d8e, v6, -v5
	v_fmac_f32_e32 v5, 0xbe8c1d8e, v6
	s_delay_alu instid0(VALU_DEP_4) | instskip(SKIP_1) | instid1(VALU_DEP_1)
	v_add_f32_e32 v37, v40, v37
	v_fma_f32 v40, 0x3f3d2fb0, v6, -v49
	v_dual_fmac_f32 v49, 0x3f3d2fb0, v6 :: v_dual_add_f32 v38, v38, v40
	s_delay_alu instid0(VALU_DEP_1) | instskip(SKIP_1) | instid1(VALU_DEP_2)
	v_dual_fmamk_f32 v40, v48, 0xbe8c1d8e, v42 :: v_dual_add_f32 v41, v43, v49
	v_sub_f32_e32 v43, v2, v4
	v_add_f32_e32 v40, v45, v40
	v_add_f32_e32 v45, v1, v3
	s_delay_alu instid0(VALU_DEP_3)
	v_mul_f32_e32 v3, 0xbe3c28d5, v43
	v_fma_f32 v1, 0xbe8c1d8e, v48, -v42
	v_add_f32_e32 v42, v2, v4
	v_mul_f32_e32 v4, 0xbe3c28d5, v46
	v_mul_f32_e32 v6, 0x3eb8f4ab, v43
	v_add_f32_e32 v36, v47, v36
	v_fmamk_f32 v2, v45, 0xbf7ba420, v3
	v_add_f32_e32 v47, v9, v1
	v_add_f32_e32 v48, v15, v5
	v_fma_f32 v5, 0xbf7ba420, v42, -v4
	v_fmamk_f32 v9, v45, 0x3f6eb680, v6
	v_add_f32_e32 v1, v10, v2
	v_fma_f32 v3, 0xbf7ba420, v45, -v3
	v_add_f32_e32 v44, v12, v44
	v_add_f32_e32 v2, v16, v5
	;; [unrolled: 1-line block ×3, first 2 shown]
	v_mul_f32_e32 v9, 0xbf06c442, v43
	v_dual_mul_f32 v12, 0x3eb8f4ab, v46 :: v_dual_add_f32 v3, v13, v3
	v_mul_f32_e32 v15, 0xbf06c442, v46
	s_delay_alu instid0(VALU_DEP_3) | instskip(SKIP_1) | instid1(VALU_DEP_4)
	v_fmamk_f32 v13, v45, 0xbf59a7d5, v9
	v_fmac_f32_e32 v4, 0xbf7ba420, v42
	v_fma_f32 v10, 0x3f6eb680, v42, -v12
	v_fmac_f32_e32 v12, 0x3f6eb680, v42
	v_fma_f32 v9, 0xbf59a7d5, v45, -v9
	s_delay_alu instid0(VALU_DEP_4) | instskip(SKIP_3) | instid1(VALU_DEP_3)
	v_add_f32_e32 v4, v11, v4
	v_fma_f32 v11, 0x3f6eb680, v45, -v6
	v_add_f32_e32 v6, v14, v10
	v_fma_f32 v14, 0xbf59a7d5, v42, -v15
	v_dual_add_f32 v10, v19, v11 :: v_dual_mul_f32 v19, 0x3f2c7751, v46
	v_add_f32_e32 v11, v24, v12
	s_delay_alu instid0(VALU_DEP_3) | instskip(SKIP_1) | instid1(VALU_DEP_4)
	v_dual_add_f32 v12, v20, v13 :: v_dual_add_f32 v13, v26, v14
	v_add_f32_e32 v14, v17, v9
	v_fma_f32 v17, 0x3f3d2fb0, v42, -v19
	v_mul_f32_e32 v9, 0xbf4c4adb, v43
	s_delay_alu instid0(VALU_DEP_2)
	v_add_f32_e32 v17, v23, v17
	v_mul_f32_e32 v23, 0xbf4c4adb, v46
	v_fmac_f32_e32 v19, 0x3f3d2fb0, v42
	v_mul_f32_e32 v18, 0x3f2c7751, v43
	v_fmac_f32_e32 v15, 0xbf59a7d5, v42
	v_fmamk_f32 v20, v45, 0xbf1a4643, v9
	v_fma_f32 v9, 0xbf1a4643, v45, -v9
	s_delay_alu instid0(VALU_DEP_4)
	v_dual_add_f32 v19, v28, v19 :: v_dual_fmamk_f32 v16, v45, 0x3f3d2fb0, v18
	v_fma_f32 v18, 0x3f3d2fb0, v45, -v18
	v_add_f32_e32 v15, v21, v15
	v_fma_f32 v21, 0xbf1a4643, v42, -v23
	v_fmac_f32_e32 v23, 0xbf1a4643, v42
	v_mul_f32_e32 v28, 0x3f65296c, v46
	v_dual_add_f32 v18, v25, v18 :: v_dual_mul_f32 v25, 0x3f65296c, v43
	s_delay_alu instid0(VALU_DEP_4) | instskip(SKIP_1) | instid1(VALU_DEP_4)
	v_dual_add_f32 v16, v22, v16 :: v_dual_add_f32 v21, v32, v21
	v_add_f32_e32 v22, v27, v9
	v_fma_f32 v9, 0x3ee437d1, v42, -v28
	v_dual_mul_f32 v27, 0xbf763a35, v43 :: v_dual_mul_f32 v32, 0xbf763a35, v46
	v_fmamk_f32 v24, v45, 0x3ee437d1, v25
	v_fma_f32 v26, 0x3ee437d1, v45, -v25
	v_dual_add_f32 v20, v29, v20 :: v_dual_add_f32 v23, v30, v23
	v_dual_add_f32 v25, v37, v9 :: v_dual_fmac_f32 v28, 0x3ee437d1, v42
	v_fmamk_f32 v9, v45, 0xbe8c1d8e, v27
	v_fma_f32 v29, 0xbe8c1d8e, v42, -v32
	v_fma_f32 v30, 0xbe8c1d8e, v45, -v27
	v_fmac_f32_e32 v32, 0xbe8c1d8e, v42
	v_add_f32_e32 v24, v33, v24
	v_dual_add_f32 v26, v34, v26 :: v_dual_mul_f32 v33, 0x3f7ee86f, v43
	v_dual_mul_f32 v34, 0x3f7ee86f, v46 :: v_dual_add_f32 v27, v36, v28
	v_add_f32_e32 v28, v39, v9
	v_dual_add_f32 v30, v31, v30 :: v_dual_add_f32 v31, v41, v32
	v_mul_u32_u24_e32 v32, 0x3b8, v35
	v_lshlrev_b32_e32 v9, 3, v106
	v_dual_add_f32 v29, v38, v29 :: v_dual_fmamk_f32 v36, v45, 0x3dbcf732, v33
	v_fma_f32 v37, 0x3dbcf732, v42, -v34
	v_fma_f32 v38, 0x3dbcf732, v45, -v33
	v_fmac_f32_e32 v34, 0x3dbcf732, v42
	v_add3_u32 v39, 0, v32, v9
	v_add_f32_e32 v32, v40, v36
	s_delay_alu instid0(VALU_DEP_4) | instskip(NEXT) | instid1(VALU_DEP_4)
	v_dual_add_f32 v33, v44, v37 :: v_dual_add_f32 v36, v47, v38
	v_add_f32_e32 v37, v48, v34
	ds_store_2addr_b64 v39, v[7:8], v[1:2] offset1:7
	ds_store_2addr_b64 v39, v[5:6], v[12:13] offset0:14 offset1:21
	ds_store_2addr_b64 v39, v[16:17], v[20:21] offset0:28 offset1:35
	;; [unrolled: 1-line block ×7, first 2 shown]
	ds_store_b64 v39, v[3:4] offset:896
	global_wb scope:SCOPE_SE
	s_wait_dscnt 0x0
	s_barrier_signal -1
	s_barrier_wait -1
	global_inv scope:SCOPE_SE
	s_and_saveexec_b32 s7, s6
	s_cbranch_execz .LBB0_18
; %bb.17:
	v_mul_hi_u32 v1, 0xf0f0f10, v35
	v_mul_u32_u24_e32 v11, 56, v35
	v_mul_lo_u32 v114, 0xffffffef, v65
	v_mul_hi_u32 v0, 0x226b903, v0
	s_lshl_b64 s[2:3], s[2:3], 3
	s_delay_alu instid0(VALU_DEP_3) | instskip(SKIP_3) | instid1(VALU_DEP_2)
	v_add3_u32 v9, 0, v11, v9
	s_wait_alu 0xfffe
	s_add_nc_u64 s[0:1], s[0:1], s[2:3]
	v_mul_u32_u24_e32 v1, 17, v1
	v_add_nc_u32_e32 v68, 0x400, v9
	v_add_nc_u32_e32 v37, 0x2c00, v9
	s_delay_alu instid0(VALU_DEP_3)
	v_sub_nc_u32_e32 v107, v35, v1
	v_add_nc_u32_e32 v38, 0x3000, v9
	v_add_nc_u32_e32 v39, 0x2400, v9
	;; [unrolled: 1-line block ×4, first 2 shown]
	v_lshlrev_b32_e32 v10, 7, v107
	v_add_nc_u32_e32 v42, 0xc00, v9
	s_clause 0x7
	global_load_b128 v[5:8], v10, s[4:5] offset:96
	global_load_b128 v[1:4], v10, s[4:5] offset:112
	;; [unrolled: 1-line block ×7, first 2 shown]
	global_load_b128 v[33:36], v10, s[4:5]
	v_add_nc_u32_e32 v10, 0x110, v107
	ds_load_b64 v[66:67], v9 offset:15232
	s_add_co_i32 s4, 0, 0x3f38
	v_mul_lo_u32 v69, v10, v65
	ds_load_2addr_b64 v[9:12], v9 offset1:119
	ds_load_2addr_b64 v[57:60], v37 offset0:20 offset1:139
	ds_load_2addr_b64 v[61:64], v38 offset0:130 offset1:249
	;; [unrolled: 1-line block ×7, first 2 shown]
	v_and_b32_e32 v70, 31, v69
	v_lshrrev_b32_e32 v71, 2, v69
	v_add_nc_u32_e32 v72, v69, v114
	v_lshrrev_b32_e32 v68, 7, v69
	s_delay_alu instid0(VALU_DEP_4) | instskip(NEXT) | instid1(VALU_DEP_4)
	v_lshl_add_u32 v69, v70, 3, 0
	v_and_b32_e32 v70, 0xf8, v71
	s_delay_alu instid0(VALU_DEP_4)
	v_lshrrev_b32_e32 v71, 7, v72
	v_and_b32_e32 v73, 31, v72
	v_lshrrev_b32_e32 v74, 2, v72
	v_add_nc_u32_e32 v72, v72, v114
	v_and_b32_e32 v68, 0xf8, v68
	v_and_b32_e32 v71, 0xf8, v71
	s_wait_alu 0xfffe
	v_add_nc_u32_e32 v70, s4, v70
	v_and_b32_e32 v74, 0xf8, v74
	v_lshrrev_b32_e32 v75, 7, v72
	v_and_b32_e32 v76, 31, v72
	v_lshrrev_b32_e32 v77, 2, v72
	v_add_nc_u32_e32 v71, s4, v71
	v_add_nc_u32_e32 v68, s4, v68
	;; [unrolled: 1-line block ×3, first 2 shown]
	v_and_b32_e32 v82, 0xf8, v75
	v_lshl_add_u32 v86, v76, 3, 0
	v_and_b32_e32 v83, 0xf8, v77
	ds_load_b64 v[74:75], v70 offset:256
	ds_load_b64 v[78:79], v71 offset:512
	;; [unrolled: 1-line block ×4, first 2 shown]
	v_add_nc_u32_e32 v72, v72, v114
	v_lshl_add_u32 v73, v73, 3, 0
	v_add_nc_u32_e32 v68, s4, v82
	s_delay_alu instid0(VALU_DEP_3) | instskip(SKIP_1) | instid1(VALU_DEP_2)
	v_lshrrev_b32_e32 v85, 7, v72
	v_lshrrev_b32_e32 v88, 2, v72
	v_and_b32_e32 v70, 0xf8, v85
	s_delay_alu instid0(VALU_DEP_2) | instskip(SKIP_3) | instid1(VALU_DEP_2)
	v_and_b32_e32 v88, 0xf8, v88
	s_wait_dscnt 0x1
	v_mul_f32_e32 v108, v76, v75
	v_mul_f32_e32 v104, v77, v75
	v_dual_fmac_f32 v108, v77, v74 :: v_dual_add_nc_u32 v69, s4, v83
	ds_load_b64 v[82:83], v73 offset:16184
	ds_load_b64 v[84:85], v84 offset:256
	v_fma_f32 v113, v76, v74, -v104
	s_wait_dscnt 0x2
	v_mul_f32_e32 v119, v108, v81
	s_wait_dscnt 0x0
	v_mul_f32_e32 v74, v83, v85
	v_mul_f32_e32 v85, v82, v85
	s_delay_alu instid0(VALU_DEP_2) | instskip(NEXT) | instid1(VALU_DEP_2)
	v_fma_f32 v82, v82, v84, -v74
	v_fmac_f32_e32 v85, v83, v84
	v_and_b32_e32 v87, 31, v72
	v_add_nc_u32_e32 v72, v72, v114
	s_delay_alu instid0(VALU_DEP_2) | instskip(NEXT) | instid1(VALU_DEP_2)
	v_lshl_add_u32 v71, v87, 3, 0
	v_add_nc_u32_e32 v91, v72, v114
	v_lshrrev_b32_e32 v90, 2, v72
	v_and_b32_e32 v89, 31, v72
	ds_load_b64 v[86:87], v86 offset:16184
	ds_load_b64 v[94:95], v68 offset:512
	v_add_nc_u32_e32 v68, s4, v70
	v_lshrrev_b32_e32 v92, 7, v91
	v_and_b32_e32 v93, 31, v91
	v_lshrrev_b32_e32 v100, 2, v91
	v_add_nc_u32_e32 v91, v91, v114
	v_add_nc_u32_e32 v70, s4, v88
	v_and_b32_e32 v90, 0xf8, v90
	v_lshrrev_b32_e32 v72, 7, v72
	v_lshl_add_u32 v73, v89, 3, 0
	v_lshrrev_b32_e32 v101, 2, v91
	ds_load_b64 v[88:89], v69 offset:256
	v_and_b32_e32 v72, 0xf8, v72
	v_and_b32_e32 v105, 0xf8, v101
	s_delay_alu instid0(VALU_DEP_2) | instskip(NEXT) | instid1(VALU_DEP_2)
	v_add_nc_u32_e32 v72, s4, v72
	v_add_nc_u32_e32 v77, s4, v105
	s_wait_dscnt 0x0
	v_mul_f32_e32 v120, v86, v89
	v_mul_f32_e32 v83, v87, v89
	s_delay_alu instid0(VALU_DEP_2) | instskip(NEXT) | instid1(VALU_DEP_2)
	v_fmac_f32_e32 v120, v87, v88
	v_fma_f32 v123, v86, v88, -v83
	s_delay_alu instid0(VALU_DEP_2)
	v_mul_f32_e32 v131, v120, v95
	s_wait_loadcnt 0x0
	v_mul_f32_e32 v151, v36, v37
	ds_load_b64 v[96:97], v70 offset:256
	ds_load_b64 v[98:99], v71 offset:16184
	;; [unrolled: 1-line block ×3, first 2 shown]
	v_add_nc_u32_e32 v70, s4, v90
	v_and_b32_e32 v71, 0xf8, v92
	v_lshl_add_u32 v90, v93, 3, 0
	v_and_b32_e32 v92, 0xf8, v100
	v_lshrrev_b32_e32 v93, 7, v91
	v_and_b32_e32 v100, 31, v91
	v_add_nc_u32_e32 v71, s4, v71
	s_delay_alu instid0(VALU_DEP_4) | instskip(NEXT) | instid1(VALU_DEP_4)
	v_add_nc_u32_e32 v75, s4, v92
	v_and_b32_e32 v92, 0xf8, v93
	s_delay_alu instid0(VALU_DEP_4)
	v_lshl_add_u32 v93, v100, 3, 0
	ds_load_b64 v[100:101], v70 offset:256
	ds_load_b64 v[70:71], v71 offset:512
	;; [unrolled: 1-line block ×6, first 2 shown]
	v_add_nc_u32_e32 v91, v91, v114
	v_add_nc_u32_e32 v76, s4, v92
	ds_load_b64 v[127:128], v93 offset:16184
	ds_load_b64 v[74:75], v76 offset:512
	v_lshrrev_b32_e32 v109, 7, v91
	v_and_b32_e32 v110, 31, v91
	v_lshrrev_b32_e32 v111, 2, v91
	ds_load_b64 v[124:125], v77 offset:256
	v_add_nc_u32_e32 v91, v91, v114
	v_and_b32_e32 v92, 0xf8, v109
	v_lshl_add_u32 v109, v110, 3, 0
	s_wait_dscnt 0xa
	v_dual_mul_f32 v83, v99, v97 :: v_dual_and_b32 v110, 0xf8, v111
	v_add_nc_u32_e32 v115, v91, v114
	v_and_b32_e32 v111, 31, v91
	v_lshrrev_b32_e32 v112, 2, v91
	v_lshrrev_b32_e32 v90, 7, v91
	v_add_nc_u32_e32 v84, s4, v110
	v_and_b32_e32 v116, 31, v115
	v_lshl_add_u32 v89, v111, 3, 0
	v_lshrrev_b32_e32 v111, 7, v115
	v_lshrrev_b32_e32 v117, 2, v115
	v_add_nc_u32_e32 v76, s4, v92
	v_lshl_add_u32 v87, v116, 3, 0
	s_wait_dscnt 0x6
	v_mul_f32_e32 v116, v102, v101
	v_and_b32_e32 v86, 0xf8, v111
	v_and_b32_e32 v88, 0xf8, v117
	v_fma_f32 v117, v98, v96, -v83
	s_delay_alu instid0(VALU_DEP_4) | instskip(SKIP_1) | instid1(VALU_DEP_1)
	v_fmac_f32_e32 v116, v103, v100
	v_dual_mul_f32 v115, v98, v97 :: v_dual_add_nc_u32 v118, v115, v114
	v_lshrrev_b32_e32 v97, 7, v118
	s_delay_alu instid0(VALU_DEP_2)
	v_fmac_f32_e32 v115, v99, v96
	v_and_b32_e32 v110, 0xf8, v112
	v_dual_mul_f32 v112, v113, v81 :: v_dual_and_b32 v81, 0xf8, v90
	ds_load_b64 v[90:91], v84 offset:256
	ds_load_b64 v[92:93], v109 offset:16184
	ds_load_b64 v[76:77], v76 offset:512
	v_and_b32_e32 v109, 31, v118
	v_lshrrev_b32_e32 v111, 2, v118
	v_add_nc_u32_e32 v118, v118, v114
	v_mul_f32_e32 v96, v103, v101
	v_fma_f32 v113, v80, v113, -v119
	v_lshl_add_u32 v98, v109, 3, 0
	v_mul_f32_e32 v109, v123, v95
	v_lshrrev_b32_e32 v101, 7, v118
	v_and_b32_e32 v126, 31, v118
	v_lshrrev_b32_e32 v129, 2, v118
	v_add_nc_u32_e32 v130, v118, v114
	s_wait_dscnt 0x6
	v_dual_mul_f32 v118, v104, v122 :: v_dual_fmac_f32 v109, v94, v120
	v_mul_f32_e32 v120, v115, v69
	v_dual_mul_f32 v69, v117, v69 :: v_dual_fmac_f32 v112, v80, v108
	v_mul_f32_e32 v80, v85, v79
	s_delay_alu instid0(VALU_DEP_4) | instskip(NEXT) | instid1(VALU_DEP_3)
	v_fmac_f32_e32 v118, v105, v121
	v_dual_fmac_f32 v69, v68, v115 :: v_dual_add_nc_u32 v108, s4, v81
	v_add_nc_u32_e32 v84, s4, v110
	v_dual_mul_f32 v110, v82, v79 :: v_dual_add_nc_u32 v81, s4, v86
	v_add_nc_u32_e32 v86, s4, v88
	v_and_b32_e32 v99, 0xf8, v111
	v_fma_f32 v111, v78, v82, -v80
	s_delay_alu instid0(VALU_DEP_4)
	v_fmac_f32_e32 v110, v78, v85
	ds_load_b64 v[78:79], v84 offset:256
	ds_load_b64 v[80:81], v81 offset:512
	;; [unrolled: 1-line block ×6, first 2 shown]
	v_mul_f32_e32 v95, v105, v122
	v_fma_f32 v108, v94, v123, -v131
	s_wait_dscnt 0x9
	v_mul_f32_e32 v122, v127, v125
	v_lshrrev_b32_e32 v103, 2, v130
	v_fma_f32 v119, v102, v100, -v96
	v_fma_f32 v123, v104, v121, -v95
	v_mul_f32_e32 v104, v128, v125
	v_fmac_f32_e32 v122, v128, v124
	v_and_b32_e32 v102, 31, v130
	v_lshl_add_u32 v132, v126, 3, 0
	s_delay_alu instid0(VALU_DEP_4) | instskip(SKIP_3) | instid1(VALU_DEP_2)
	v_fma_f32 v125, v127, v124, -v104
	s_wait_dscnt 0x7
	v_dual_mul_f32 v124, v92, v91 :: v_dual_and_b32 v97, 0xf8, v97
	v_lshl_add_u32 v121, v102, 3, 0
	v_fmac_f32_e32 v124, v93, v90
	s_wait_dscnt 0x3
	v_mul_f32_e32 v140, v88, v79
	s_wait_dscnt 0x0
	v_mul_f32_e32 v142, v84, v87
	v_and_b32_e32 v131, 0xf8, v103
	v_mul_f32_e32 v137, v85, v87
	v_fmac_f32_e32 v140, v89, v78
	s_delay_alu instid0(VALU_DEP_4)
	v_fmac_f32_e32 v142, v85, v86
	v_add_nc_u32_e32 v96, s4, v97
	v_add_nc_u32_e32 v97, s4, v99
	ds_load_b64 v[98:99], v98 offset:16184
	ds_load_b64 v[94:95], v96 offset:512
	v_fma_f32 v143, v84, v86, -v137
	ds_load_b64 v[102:103], v97 offset:256
	s_wait_dscnt 0x0
	v_mul_f32_e32 v84, v99, v103
	v_mul_f32_e32 v144, v98, v103
	s_delay_alu instid0(VALU_DEP_2) | instskip(SKIP_1) | instid1(VALU_DEP_3)
	v_fma_f32 v146, v98, v102, -v84
	v_and_b32_e32 v100, 0xf8, v101
	v_dual_fmac_f32 v144, v99, v102 :: v_dual_and_b32 v101, 0xf8, v129
	s_delay_alu instid0(VALU_DEP_2) | instskip(NEXT) | instid1(VALU_DEP_2)
	v_dual_mul_f32 v99, v52, v18 :: v_dual_add_nc_u32 v96, s4, v100
	v_add_nc_u32_e32 v100, s4, v101
	ds_load_b64 v[100:101], v100 offset:256
	ds_load_b64 v[104:105], v132 offset:16184
	ds_load_b64 v[96:97], v96 offset:512
	v_fmac_f32_e32 v99, v51, v17
	s_wait_dscnt 0x1
	v_mul_f32_e32 v103, v105, v101
	v_mul_f32_e32 v145, v104, v101
	;; [unrolled: 1-line block ×4, first 2 shown]
	s_delay_alu instid0(VALU_DEP_4)
	v_fma_f32 v147, v104, v100, -v103
	v_add_nc_u32_e32 v126, v130, v114
	v_mul_f32_e32 v103, v44, v26
	v_mul_f32_e32 v26, v43, v26
	v_lshrrev_b32_e32 v130, 7, v130
	v_fmac_f32_e32 v145, v105, v100
	s_delay_alu instid0(VALU_DEP_4) | instskip(NEXT) | instid1(VALU_DEP_4)
	v_dual_mul_f32 v104, v42, v32 :: v_dual_fmac_f32 v103, v43, v25
	v_fma_f32 v43, v44, v25, -v26
	s_wait_dscnt 0x0
	v_dual_mul_f32 v25, v147, v97 :: v_dual_and_b32 v134, 31, v126
	v_lshrrev_b32_e32 v135, 2, v126
	v_add_nc_u32_e32 v129, v126, v114
	s_delay_alu instid0(VALU_DEP_3)
	v_dual_fmac_f32 v25, v96, v145 :: v_dual_and_b32 v136, 0xf8, v130
	v_mul_f32_e32 v130, v93, v91
	v_lshl_add_u32 v127, v134, 3, 0
	v_and_b32_e32 v134, 0xf8, v135
	v_lshrrev_b32_e32 v135, 2, v129
	v_lshrrev_b32_e32 v133, 7, v126
	v_fma_f32 v139, v92, v90, -v130
	v_mul_f32_e32 v90, v89, v79
	v_add_nc_u32_e32 v91, s4, v131
	v_and_b32_e32 v92, 0xf8, v135
	v_and_b32_e32 v131, 0xf8, v133
	v_lshrrev_b32_e32 v132, 7, v129
	v_and_b32_e32 v133, 31, v129
	v_add_nc_u32_e32 v114, v129, v114
	v_add_nc_u32_e32 v129, s4, v134
	;; [unrolled: 1-line block ×3, first 2 shown]
	v_fma_f32 v141, v88, v78, -v90
	v_add_nc_u32_e32 v136, s4, v92
	ds_load_b64 v[92:93], v127 offset:16184
	ds_load_b64 v[129:130], v129 offset:256
	;; [unrolled: 1-line block ×4, first 2 shown]
	v_lshrrev_b32_e32 v134, 2, v114
	v_mul_f32_e32 v121, v34, v12
	v_dual_mul_f32 v152, v34, v11 :: v_dual_fmac_f32 v101, v47, v21
	v_mul_f32_e32 v102, v46, v28
	v_fmac_f32_e32 v104, v41, v31
	s_delay_alu instid0(VALU_DEP_4) | instskip(NEXT) | instid1(VALU_DEP_4)
	v_fmac_f32_e32 v121, v33, v11
	v_fma_f32 v33, v33, v12, -v152
	s_delay_alu instid0(VALU_DEP_4) | instskip(SKIP_3) | instid1(VALU_DEP_4)
	v_dual_mul_f32 v105, v40, v30 :: v_dual_fmac_f32 v102, v45, v27
	v_mul_f32_e32 v126, v116, v73
	v_mul_f32_e32 v73, v119, v73
	v_fma_f32 v47, v48, v21, -v22
	v_fmac_f32_e32 v105, v29, v39
	v_mul_f32_e32 v21, v143, v81
	v_fma_f32 v11, v68, v117, -v120
	s_wait_dscnt 0x0
	v_dual_fmac_f32 v73, v72, v116 :: v_dual_mul_f32 v98, v89, v91
	v_mul_f32_e32 v148, v88, v91
	v_add_nc_u32_e32 v79, s4, v131
	v_and_b32_e32 v131, 0xf8, v132
	v_fmac_f32_e32 v21, v80, v142
	v_fma_f32 v149, v88, v90, -v98
	v_fmac_f32_e32 v148, v89, v90
	v_mul_f32_e32 v88, v93, v130
	v_mul_f32_e32 v130, v92, v130
	v_lshl_add_u32 v135, v133, 3, 0
	v_lshrrev_b32_e32 v133, 7, v114
	v_add_nc_u32_e32 v78, s4, v131
	ds_load_b64 v[131:132], v79 offset:512
	ds_load_b64 v[127:128], v128 offset:512
	v_dual_fmac_f32 v130, v93, v129 :: v_dual_and_b32 v87, 0xf8, v134
	v_and_b32_e32 v79, 0xf8, v133
	ds_load_b64 v[133:134], v136 offset:256
	ds_load_b64 v[135:136], v135 offset:16184
	ds_load_b64 v[137:138], v78 offset:512
	v_fma_f32 v150, v92, v129, -v88
	v_mul_f32_e32 v93, v56, v14
	v_mul_f32_e32 v14, v55, v14
	v_and_b32_e32 v114, 31, v114
	v_dual_mul_f32 v89, v64, v2 :: v_dual_add_nc_u32 v78, s4, v79
	s_delay_alu instid0(VALU_DEP_4) | instskip(NEXT) | instid1(VALU_DEP_4)
	v_fmac_f32_e32 v93, v55, v13
	v_fma_f32 v55, v56, v13, -v14
	s_delay_alu instid0(VALU_DEP_4)
	v_lshl_add_u32 v114, v114, 3, 0
	v_mul_f32_e32 v88, v67, v4
	v_dual_fmac_f32 v89, v63, v1 :: v_dual_mul_f32 v4, v66, v4
	v_mul_f32_e32 v90, v62, v8
	v_sub_f32_e32 v154, v102, v93
	v_fma_f32 v13, v72, v119, -v126
	s_wait_dscnt 0x1
	v_dual_mul_f32 v14, v123, v71 :: v_dual_mul_f32 v91, v136, v134
	v_mul_f32_e32 v134, v135, v134
	s_delay_alu instid0(VALU_DEP_2) | instskip(NEXT) | instid1(VALU_DEP_2)
	v_fma_f32 v129, v135, v133, -v91
	v_dual_mul_f32 v135, v41, v32 :: v_dual_fmac_f32 v134, v136, v133
	v_mul_f32_e32 v133, v45, v28
	v_fma_f32 v28, v67, v3, -v4
	v_mul_f32_e32 v91, v60, v6
	s_delay_alu instid0(VALU_DEP_4) | instskip(SKIP_4) | instid1(VALU_DEP_4)
	v_fma_f32 v31, v42, v31, -v135
	v_mul_f32_e32 v92, v58, v16
	v_fma_f32 v27, v46, v27, -v133
	v_mul_f32_e32 v16, v57, v16
	v_dual_add_f32 v72, v33, v28 :: v_dual_fmac_f32 v91, v59, v5
	v_fmac_f32_e32 v92, v57, v15
	v_add_nc_u32_e32 v86, s4, v87
	ds_load_b64 v[78:79], v78 offset:512
	ds_load_b64 v[84:85], v114 offset:16184
	;; [unrolled: 1-line block ×3, first 2 shown]
	v_mul_f32_e32 v114, v36, v38
	v_fma_f32 v36, v58, v15, -v16
	v_mul_f32_e32 v136, v30, v39
	v_sub_f32_e32 v156, v27, v55
	s_delay_alu instid0(VALU_DEP_3) | instskip(NEXT) | instid1(VALU_DEP_3)
	v_sub_f32_e32 v155, v43, v36
	v_fma_f32 v29, v40, v29, -v136
	v_mul_f32_e32 v2, v63, v2
	v_mul_f32_e32 v98, v54, v20
	;; [unrolled: 1-line block ×3, first 2 shown]
	v_dual_fmac_f32 v114, v35, v37 :: v_dual_mul_f32 v37, 0xbf763a35, v155
	s_delay_alu instid0(VALU_DEP_4)
	v_fma_f32 v30, v64, v1, -v2
	v_mul_f32_e32 v1, v118, v71
	v_fmac_f32_e32 v98, v53, v19
	v_mul_f32_e32 v100, v50, v24
	v_mul_f32_e32 v24, v49, v24
	v_fma_f32 v53, v54, v19, -v20
	v_fma_f32 v15, v70, v123, -v1
	v_mul_f32_e32 v1, v124, v77
	v_sub_f32_e32 v157, v101, v98
	v_fmac_f32_e32 v100, v49, v23
	v_fma_f32 v49, v50, v23, -v24
	v_mul_f32_e32 v23, v146, v95
	v_fma_f32 v20, v76, v139, -v1
	s_delay_alu instid0(VALU_DEP_4) | instskip(SKIP_1) | instid1(VALU_DEP_4)
	v_dual_mul_f32 v1, v142, v81 :: v_dual_sub_f32 v160, v100, v99
	v_fmac_f32_e32 v88, v66, v3
	v_dual_fmac_f32 v23, v94, v144 :: v_dual_fmac_f32 v90, v61, v7
	v_add_f32_e32 v63, v47, v53
	s_delay_alu instid0(VALU_DEP_4) | instskip(NEXT) | instid1(VALU_DEP_4)
	v_fma_f32 v24, v80, v143, -v1
	v_dual_mul_f32 v1, v144, v95 :: v_dual_sub_f32 v144, v121, v88
	v_dual_mul_f32 v2, v122, v75 :: v_dual_mul_f32 v95, v149, v128
	v_mul_f32_e32 v80, 0xbf4c4adb, v154
	s_delay_alu instid0(VALU_DEP_3)
	v_fma_f32 v26, v94, v146, -v1
	v_mul_f32_e32 v1, v145, v97
	v_add_f32_e32 v81, v27, v55
	v_mul_f32_e32 v18, v51, v18
	v_fma_f32 v35, v35, v38, -v151
	v_sub_f32_e32 v146, v114, v89
	v_fma_f32 v97, v96, v147, -v1
	v_mul_f32_e32 v1, v148, v128
	v_sub_f32_e32 v147, v103, v92
	v_mul_f32_e32 v128, 0xbf2c7751, v144
	v_mul_f32_e32 v16, v125, v75
	v_fma_f32 v51, v52, v17, -v18
	v_fma_f32 v17, v74, v125, -v2
	v_mul_f32_e32 v71, 0xbeb8f4ab, v144
	s_delay_alu instid0(VALU_DEP_4)
	v_dual_add_f32 v75, v43, v36 :: v_dual_fmac_f32 v16, v74, v122
	v_mul_f32_e32 v74, 0xbf763a35, v147
	v_mul_f32_e32 v8, v61, v8
	v_sub_f32_e32 v151, v105, v90
	v_mul_f32_e32 v67, 0xbf2c7751, v146
	v_fma_f32 v94, v127, v149, -v1
	v_fmamk_f32 v1, v72, 0x3f6eb680, v71
	v_fma_f32 v32, v62, v7, -v8
	v_dual_sub_f32 v159, v49, v51 :: v_dual_fmac_f32 v14, v70, v118
	v_dual_add_f32 v70, v35, v30 :: v_dual_mul_f32 v61, 0xbf65296c, v151
	s_delay_alu instid0(VALU_DEP_3) | instskip(SKIP_2) | instid1(VALU_DEP_4)
	v_add_f32_e32 v68, v29, v32
	v_add_f32_e32 v1, v1, v10
	v_fmac_f32_e32 v95, v127, v148
	v_fmamk_f32 v3, v70, 0x3f3d2fb0, v67
	s_delay_alu instid0(VALU_DEP_4) | instskip(SKIP_1) | instid1(VALU_DEP_3)
	v_dual_sub_f32 v145, v33, v28 :: v_dual_fmamk_f32 v4, v68, 0x3ee437d1, v61
	v_dual_mul_f32 v127, 0xbf7ee86f, v146 :: v_dual_sub_f32 v152, v104, v91
	v_add_f32_e32 v1, v3, v1
	v_mul_f32_e32 v6, v59, v6
	s_delay_alu instid0(VALU_DEP_4) | instskip(SKIP_1) | instid1(VALU_DEP_4)
	v_mul_f32_e32 v40, 0xbeb8f4ab, v145
	v_dual_sub_f32 v148, v35, v30 :: v_dual_mul_f32 v115, 0x3eb8f4ab, v160
	v_add_f32_e32 v1, v4, v1
	s_delay_alu instid0(VALU_DEP_4)
	v_fma_f32 v34, v60, v5, -v6
	v_mul_f32_e32 v64, 0xbf7ee86f, v152
	v_mul_f32_e32 v59, 0xbe3c28d5, v160
	v_add_f32_e32 v46, v121, v88
	v_add_f32_e32 v52, v114, v89
	;; [unrolled: 1-line block ×3, first 2 shown]
	v_mul_f32_e32 v42, 0xbf2c7751, v148
	v_sub_f32_e32 v149, v29, v32
	v_fma_f32 v4, 0x3f6eb680, v46, -v40
	s_delay_alu instid0(VALU_DEP_4) | instskip(NEXT) | instid1(VALU_DEP_4)
	v_dual_mul_f32 v2, v140, v83 :: v_dual_fmamk_f32 v3, v66, 0x3dbcf732, v64
	v_fma_f32 v5, 0x3f3d2fb0, v52, -v42
	v_add_f32_e32 v54, v105, v90
	s_delay_alu instid0(VALU_DEP_4)
	v_add_f32_e32 v4, v4, v9
	v_mul_f32_e32 v44, 0xbf65296c, v149
	v_add_f32_e32 v1, v3, v1
	v_fmamk_f32 v3, v75, 0xbe8c1d8e, v74
	v_dual_sub_f32 v153, v31, v34 :: v_dual_mul_f32 v62, 0xbf06c442, v157
	v_mul_f32_e32 v19, v141, v83
	s_delay_alu instid0(VALU_DEP_3) | instskip(NEXT) | instid1(VALU_DEP_3)
	v_dual_add_f32 v56, v104, v91 :: v_dual_add_f32 v1, v3, v1
	v_mul_f32_e32 v135, 0x3f763a35, v153
	v_add_f32_e32 v3, v5, v4
	v_fmamk_f32 v5, v81, 0xbf1a4643, v80
	s_wait_dscnt 0x3
	v_dual_mul_f32 v48, 0xbf7ee86f, v153 :: v_dual_mul_f32 v83, v129, v138
	v_fma_f32 v22, v82, v141, -v2
	v_mul_f32_e32 v141, 0x3e3c28d5, v151
	v_fma_f32 v4, 0x3ee437d1, v54, -v44
	v_add_f32_e32 v1, v5, v1
	v_dual_fmamk_f32 v5, v63, 0xbf59a7d5, v62 :: v_dual_add_f32 v58, v102, v93
	s_delay_alu instid0(VALU_DEP_3) | instskip(SKIP_1) | instid1(VALU_DEP_3)
	v_dual_mul_f32 v38, 0xbf4c4adb, v156 :: v_dual_add_f32 v3, v4, v3
	v_fma_f32 v4, 0x3dbcf732, v56, -v48
	v_add_f32_e32 v1, v5, v1
	v_mul_f32_e32 v5, v134, v138
	v_add_f32_e32 v57, v103, v92
	v_dual_sub_f32 v158, v47, v53 :: v_dual_mul_f32 v133, 0x3f2c7751, v155
	v_dual_add_f32 v3, v4, v3 :: v_dual_mul_f32 v2, v130, v132
	v_mul_f32_e32 v123, 0x3f763a35, v154
	s_delay_alu instid0(VALU_DEP_4) | instskip(NEXT) | instid1(VALU_DEP_4)
	v_fma_f32 v4, 0xbe8c1d8e, v57, -v37
	v_dual_mul_f32 v39, 0xbf06c442, v158 :: v_dual_add_f32 v60, v49, v51
	v_mul_f32_e32 v117, 0xbf2c7751, v145
	v_add_f32_e32 v45, v101, v98
	s_delay_alu instid0(VALU_DEP_4) | instskip(SKIP_4) | instid1(VALU_DEP_4)
	v_add_f32_e32 v3, v4, v3
	v_fma_f32 v4, 0xbf1a4643, v58, -v38
	v_fmac_f32_e32 v19, v82, v140
	v_fma_f32 v82, v131, v150, -v2
	v_mul_f32_e32 v41, 0xbe3c28d5, v159
	v_dual_fmamk_f32 v6, v70, 0x3dbcf732, v127 :: v_dual_add_f32 v3, v4, v3
	v_fma_f32 v4, 0xbf59a7d5, v45, -v39
	v_mul_f32_e32 v18, v139, v77
	v_fma_f32 v77, v137, v129, -v5
	v_mul_f32_e32 v129, 0xbf7ee86f, v158
	v_fmamk_f32 v2, v60, 0xbf7ba420, v59
	v_add_f32_e32 v3, v4, v3
	v_mul_f32_e32 v126, 0xbf4c4adb, v151
	v_dual_fmac_f32 v18, v76, v124 :: v_dual_fmac_f32 v83, v137, v134
	s_delay_alu instid0(VALU_DEP_4)
	v_add_f32_e32 v2, v2, v1
	v_mul_f32_e32 v116, 0x3f65296c, v157
	v_mul_f32_e32 v134, 0xbf65296c, v145
	;; [unrolled: 1-line block ×4, first 2 shown]
	v_dual_mul_f32 v1, v2, v112 :: v_dual_add_f32 v50, v100, v99
	v_mul_f32_e32 v136, 0x3e3c28d5, v149
	v_mul_f32_e32 v122, 0xbf7ee86f, v148
	s_delay_alu instid0(VALU_DEP_4)
	v_fma_f32 v8, 0xbf1a4643, v52, -v137
	v_mul_f32_e32 v173, 0x3f4c4adb, v158
	v_fma_f32 v4, 0xbf7ba420, v50, -v41
	v_mul_f32_e32 v187, 0xbe3c28d5, v155
	;; [unrolled: 2-line block ×3, first 2 shown]
	v_fma_f32 v175, 0xbf1a4643, v45, -v173
	v_dual_add_f32 v3, v4, v3 :: v_dual_mul_f32 v120, 0xbf4c4adb, v149
	v_mul_f32_e32 v166, 0x3f763a35, v151
	v_mul_f32_e32 v167, 0x3eb8f4ab, v153
	s_delay_alu instid0(VALU_DEP_3)
	v_dual_mul_f32 v139, 0x3f2c7751, v147 :: v_dual_mul_f32 v4, v3, v112
	v_fmac_f32_e32 v1, v3, v113
	v_fmamk_f32 v3, v72, 0x3f3d2fb0, v128
	v_mul_f32_e32 v112, 0x3f65296c, v158
	v_mul_f32_e32 v96, 0x3eb8f4ab, v159
	v_fma_f32 v2, v2, v113, -v4
	v_mul_f32_e32 v113, 0x3f763a35, v156
	v_add_f32_e32 v3, v3, v10
	v_mul_f32_e32 v125, 0xbe3c28d5, v152
	v_mul_f32_e32 v124, 0x3f06c442, v147
	v_dual_mul_f32 v76, v150, v132 :: v_dual_mul_f32 v143, 0xbf4c4adb, v146
	s_delay_alu instid0(VALU_DEP_4)
	v_dual_add_f32 v3, v6, v3 :: v_dual_fmamk_f32 v6, v68, 0xbf1a4643, v126
	v_mul_f32_e32 v132, 0xbf7ee86f, v157
	v_mul_f32_e32 v162, 0xbe3c28d5, v146
	v_mul_f32_e32 v168, 0x3eb8f4ab, v152
	v_mul_f32_e32 v169, 0xbf65296c, v155
	v_add_f32_e32 v3, v6, v3
	v_fmamk_f32 v6, v66, 0xbf7ba420, v125
	v_fmamk_f32 v161, v63, 0x3dbcf732, v132
	;; [unrolled: 1-line block ×3, first 2 shown]
	v_dual_mul_f32 v142, 0xbf65296c, v144 :: v_dual_mul_f32 v185, 0xbf65296c, v153
	s_delay_alu instid0(VALU_DEP_4)
	v_dual_add_f32 v3, v6, v3 :: v_dual_fmamk_f32 v6, v75, 0xbf59a7d5, v124
	v_mul_f32_e32 v170, 0xbf65296c, v147
	v_fmamk_f32 v7, v70, 0xbf1a4643, v143
	v_mul_f32_e32 v140, 0x3f763a35, v152
	v_fma_f32 v150, 0x3dbcf732, v45, -v129
	v_dual_add_f32 v3, v6, v3 :: v_dual_fmamk_f32 v6, v81, 0xbe8c1d8e, v123
	v_mul_f32_e32 v174, 0x3f4c4adb, v157
	v_mul_f32_e32 v164, 0x3f763a35, v149
	v_dual_mul_f32 v200, 0xbf06c442, v152 :: v_dual_mul_f32 v207, 0xbf06c442, v145
	s_delay_alu instid0(VALU_DEP_4) | instskip(SKIP_3) | instid1(VALU_DEP_4)
	v_dual_add_f32 v3, v6, v3 :: v_dual_fmamk_f32 v6, v63, 0x3ee437d1, v116
	v_mul_f32_e32 v211, 0x3f65296c, v148
	v_mul_f32_e32 v181, 0x3f2c7751, v151
	;; [unrolled: 1-line block ×3, first 2 shown]
	v_dual_mul_f32 v214, 0xbf7ee86f, v149 :: v_dual_add_f32 v3, v6, v3
	v_fmamk_f32 v6, v60, 0x3f6eb680, v115
	v_fma_f32 v4, 0x3f3d2fb0, v46, -v117
	v_mul_f32_e32 v183, 0x3f2c7751, v149
	v_fma_f32 v210, 0xbf59a7d5, v46, -v207
	v_fma_f32 v213, 0x3ee437d1, v52, -v211
	v_add_f32_e32 v6, v6, v3
	v_fma_f32 v3, 0x3ee437d1, v46, -v134
	v_add_f32_e32 v4, v4, v9
	v_mul_f32_e32 v220, 0xbeb8f4ab, v147
	v_add_f32_e32 v210, v210, v9
	s_delay_alu instid0(VALU_DEP_4) | instskip(NEXT) | instid1(VALU_DEP_4)
	v_dual_mul_f32 v176, 0x3f2c7751, v159 :: v_dual_add_f32 v3, v3, v9
	v_add_f32_e32 v4, v5, v4
	v_fma_f32 v5, 0xbf1a4643, v54, -v120
	v_mul_f32_e32 v198, 0xbeb8f4ab, v151
	v_dual_add_f32 v210, v213, v210 :: v_dual_mul_f32 v217, 0x3f4c4adb, v153
	v_add_f32_e32 v3, v8, v3
	v_fma_f32 v8, 0xbf7ba420, v54, -v136
	v_add_f32_e32 v4, v5, v4
	v_fma_f32 v5, 0xbf7ba420, v56, -v119
	v_mul_f32_e32 v179, 0x3f06c442, v148
	v_mul_f32_e32 v191, 0xbeb8f4ab, v158
	v_add_f32_e32 v3, v8, v3
	v_fma_f32 v8, 0xbe8c1d8e, v56, -v135
	v_add_f32_e32 v4, v5, v4
	v_fma_f32 v5, 0xbf59a7d5, v57, -v118
	v_fma_f32 v213, 0x3dbcf732, v54, -v214
	v_dual_mul_f32 v192, 0xbeb8f4ab, v157 :: v_dual_mul_f32 v219, 0xbeb8f4ab, v155
	v_add_f32_e32 v3, v8, v3
	v_fma_f32 v8, 0x3f3d2fb0, v57, -v133
	v_add_f32_e32 v4, v5, v4
	v_fma_f32 v5, 0xbe8c1d8e, v58, -v113
	v_dual_add_f32 v210, v213, v210 :: v_dual_mul_f32 v225, 0xbf763a35, v159
	s_delay_alu instid0(VALU_DEP_4) | instskip(NEXT) | instid1(VALU_DEP_3)
	v_dual_add_f32 v8, v8, v3 :: v_dual_mul_f32 v3, v6, v110
	v_add_f32_e32 v4, v5, v4
	v_fma_f32 v5, 0x3ee437d1, v45, -v112
	v_fma_f32 v213, 0xbf1a4643, v56, -v217
	;; [unrolled: 1-line block ×3, first 2 shown]
	v_mul_f32_e32 v223, 0x3f2c7751, v158
	s_delay_alu instid0(VALU_DEP_4) | instskip(SKIP_4) | instid1(VALU_DEP_4)
	v_dual_mul_f32 v153, 0x3f2c7751, v153 :: v_dual_add_f32 v4, v5, v4
	v_fma_f32 v5, 0x3f6eb680, v50, -v96
	v_add_f32_e32 v210, v213, v210
	v_fma_f32 v213, 0x3f6eb680, v57, -v219
	v_mul_f32_e32 v184, 0xbf65296c, v152
	v_dual_mul_f32 v224, 0x3f2c7751, v157 :: v_dual_add_f32 v5, v5, v4
	v_fmamk_f32 v4, v72, 0x3ee437d1, v142
	v_fmac_f32_e32 v76, v131, v130
	v_add_f32_e32 v210, v213, v210
	v_dual_mul_f32 v186, 0xbe3c28d5, v147 :: v_dual_mul_f32 v205, 0xbe3c28d5, v158
	s_delay_alu instid0(VALU_DEP_4) | instskip(SKIP_2) | instid1(VALU_DEP_3)
	v_dual_add_f32 v4, v4, v10 :: v_dual_fmac_f32 v3, v5, v111
	v_mul_f32_e32 v201, 0x3f7ee86f, v155
	v_mul_f32_e32 v202, 0x3f7ee86f, v147
	v_dual_mul_f32 v147, 0xbf4c4adb, v147 :: v_dual_add_f32 v4, v7, v4
	v_fmamk_f32 v7, v68, 0xbf7ba420, v141
	v_mul_f32_e32 v138, 0xbeb8f4ab, v154
	v_mul_f32_e32 v172, 0xbf06c442, v154
	;; [unrolled: 1-line block ×4, first 2 shown]
	v_dual_add_f32 v4, v7, v4 :: v_dual_fmamk_f32 v7, v66, 0xbe8c1d8e, v140
	v_dual_mul_f32 v131, 0xbeb8f4ab, v156 :: v_dual_mul_f32 v12, v5, v110
	v_dual_mul_f32 v171, 0xbf06c442, v156 :: v_dual_mul_f32 v110, 0xbf06c442, v159
	s_delay_alu instid0(VALU_DEP_3) | instskip(SKIP_1) | instid1(VALU_DEP_4)
	v_add_f32_e32 v4, v7, v4
	v_fmamk_f32 v7, v75, 0x3f3d2fb0, v139
	v_fma_f32 v130, 0x3f6eb680, v58, -v131
	v_mul_f32_e32 v193, 0xbf4c4adb, v160
	v_mul_f32_e32 v177, 0x3f2c7751, v160
	v_dual_mul_f32 v206, 0xbe3c28d5, v157 :: v_dual_mul_f32 v221, 0xbe3c28d5, v156
	v_dual_add_f32 v4, v7, v4 :: v_dual_fmamk_f32 v7, v81, 0x3f6eb680, v138
	v_add_f32_e32 v8, v130, v8
	v_mul_f32_e32 v130, 0xbf06c442, v160
	v_fmamk_f32 v195, v60, 0xbf1a4643, v193
	v_fma_f32 v213, 0xbf7ba420, v58, -v221
	v_add_f32_e32 v7, v7, v4
	v_fma_f32 v4, v6, v111, -v12
	v_add_f32_e32 v6, v150, v8
	v_mul_f32_e32 v150, 0xbf7ee86f, v145
	v_fma_f32 v8, 0xbf59a7d5, v50, -v110
	v_dual_add_f32 v7, v161, v7 :: v_dual_fmamk_f32 v12, v60, 0xbf59a7d5, v130
	v_mul_f32_e32 v111, 0xbf7ee86f, v144
	s_delay_alu instid0(VALU_DEP_4) | instskip(NEXT) | instid1(VALU_DEP_4)
	v_fma_f32 v5, 0x3dbcf732, v46, -v150
	v_dual_mul_f32 v161, 0xbe3c28d5, v148 :: v_dual_add_f32 v8, v8, v6
	s_delay_alu instid0(VALU_DEP_4) | instskip(NEXT) | instid1(VALU_DEP_3)
	v_add_f32_e32 v6, v12, v7
	v_dual_fmamk_f32 v12, v72, 0x3dbcf732, v111 :: v_dual_add_f32 v5, v5, v9
	s_delay_alu instid0(VALU_DEP_3) | instskip(SKIP_1) | instid1(VALU_DEP_3)
	v_fma_f32 v163, 0xbf7ba420, v52, -v161
	v_dual_mul_f32 v157, 0xbf763a35, v157 :: v_dual_add_f32 v210, v213, v210
	v_add_f32_e32 v12, v12, v10
	v_fma_f32 v213, 0x3f3d2fb0, v45, -v223
	s_delay_alu instid0(VALU_DEP_4) | instskip(SKIP_3) | instid1(VALU_DEP_3)
	v_add_f32_e32 v5, v163, v5
	v_fma_f32 v163, 0xbe8c1d8e, v54, -v164
	v_mul_f32_e32 v203, 0xbf2c7751, v156
	v_dual_add_f32 v12, v165, v12 :: v_dual_fmamk_f32 v165, v68, 0xbe8c1d8e, v166
	v_dual_add_f32 v210, v213, v210 :: v_dual_add_f32 v5, v163, v5
	v_fma_f32 v163, 0x3f6eb680, v56, -v167
	v_fma_f32 v213, 0xbe8c1d8e, v50, -v225
	s_delay_alu instid0(VALU_DEP_4) | instskip(SKIP_1) | instid1(VALU_DEP_4)
	v_dual_add_f32 v12, v165, v12 :: v_dual_fmamk_f32 v165, v66, 0x3f6eb680, v168
	v_mul_f32_e32 v189, 0x3f7ee86f, v156
	v_add_f32_e32 v5, v163, v5
	v_fma_f32 v163, 0x3ee437d1, v57, -v169
	v_add_f32_e32 v210, v213, v210
	v_dual_add_f32 v12, v165, v12 :: v_dual_fmamk_f32 v165, v75, 0x3ee437d1, v170
	s_delay_alu instid0(VALU_DEP_3) | instskip(SKIP_2) | instid1(VALU_DEP_4)
	v_dual_fmamk_f32 v190, v60, 0x3f3d2fb0, v177 :: v_dual_add_f32 v5, v163, v5
	v_fma_f32 v163, 0xbf59a7d5, v58, -v171
	v_mul_f32_e32 v196, 0xbeb8f4ab, v149
	v_add_f32_e32 v12, v165, v12
	v_fmamk_f32 v165, v81, 0xbf59a7d5, v172
	s_delay_alu instid0(VALU_DEP_4) | instskip(SKIP_1) | instid1(VALU_DEP_3)
	v_dual_mul_f32 v216, 0xbf7ee86f, v151 :: v_dual_add_f32 v163, v163, v5
	v_dual_mul_f32 v5, v6, v109 :: v_dual_mul_f32 v212, 0x3f65296c, v146
	v_add_f32_e32 v12, v165, v12
	v_fma_f32 v165, 0x3f3d2fb0, v50, -v176
	s_delay_alu instid0(VALU_DEP_4)
	v_add_f32_e32 v163, v175, v163
	v_mul_f32_e32 v175, 0xbf763a35, v144
	v_mul_f32_e32 v7, v8, v109
	v_fmamk_f32 v109, v63, 0xbf1a4643, v174
	v_fmac_f32_e32 v5, v8, v108
	v_fmamk_f32 v215, v70, 0x3ee437d1, v212
	v_mul_f32_e32 v218, 0x3f4c4adb, v152
	v_fma_f32 v6, v6, v108, -v7
	v_add_f32_e32 v7, v109, v12
	v_dual_mul_f32 v109, 0xbf763a35, v145 :: v_dual_add_f32 v12, v165, v163
	v_fmamk_f32 v163, v72, 0xbe8c1d8e, v175
	s_delay_alu instid0(VALU_DEP_3) | instskip(NEXT) | instid1(VALU_DEP_3)
	v_dual_mul_f32 v165, 0x3f06c442, v146 :: v_dual_add_f32 v190, v190, v7
	v_fma_f32 v178, 0xbe8c1d8e, v46, -v109
	s_delay_alu instid0(VALU_DEP_3) | instskip(NEXT) | instid1(VALU_DEP_3)
	v_dual_mul_f32 v194, v12, v69 :: v_dual_add_f32 v163, v163, v10
	v_fmamk_f32 v180, v70, 0xbf59a7d5, v165
	v_mul_f32_e32 v108, 0xbf4c4adb, v145
	s_delay_alu instid0(VALU_DEP_4) | instskip(NEXT) | instid1(VALU_DEP_4)
	v_add_f32_e32 v178, v178, v9
	v_fma_f32 v8, v190, v11, -v194
	s_delay_alu instid0(VALU_DEP_4) | instskip(SKIP_1) | instid1(VALU_DEP_4)
	v_dual_mul_f32 v194, 0x3f763a35, v146 :: v_dual_add_f32 v163, v180, v163
	v_fmamk_f32 v180, v68, 0x3f3d2fb0, v181
	v_add_f32_e32 v178, v182, v178
	v_fma_f32 v182, 0x3f3d2fb0, v54, -v183
	s_delay_alu instid0(VALU_DEP_4) | instskip(NEXT) | instid1(VALU_DEP_4)
	v_fmamk_f32 v197, v70, 0xbe8c1d8e, v194
	v_dual_mul_f32 v222, 0xbe3c28d5, v154 :: v_dual_add_f32 v163, v180, v163
	v_fmamk_f32 v180, v66, 0x3ee437d1, v184
	s_delay_alu instid0(VALU_DEP_4) | instskip(SKIP_4) | instid1(VALU_DEP_4)
	v_add_f32_e32 v178, v182, v178
	v_fma_f32 v182, 0x3ee437d1, v56, -v185
	v_mul_f32_e32 v226, 0xbf763a35, v160
	v_mul_f32_e32 v145, 0xbe3c28d5, v145
	v_dual_add_f32 v163, v180, v163 :: v_dual_fmamk_f32 v180, v75, 0xbf7ba420, v186
	v_add_f32_e32 v178, v182, v178
	v_fma_f32 v182, 0xbf7ba420, v57, -v187
	v_mul_f32_e32 v151, 0xbf06c442, v151
	v_mul_f32_e32 v149, 0xbf06c442, v149
	v_dual_add_f32 v163, v180, v163 :: v_dual_fmamk_f32 v180, v81, 0x3dbcf732, v188
	s_delay_alu instid0(VALU_DEP_4) | instskip(SKIP_4) | instid1(VALU_DEP_4)
	v_add_f32_e32 v178, v182, v178
	v_fma_f32 v182, 0x3dbcf732, v58, -v189
	v_mul_f32_e32 v155, 0xbf4c4adb, v155
	v_fmac_f32_e32 v207, 0xbf59a7d5, v46
	v_add_f32_e32 v7, v180, v163
	v_dual_mul_f32 v180, 0xbf4c4adb, v159 :: v_dual_add_f32 v163, v182, v178
	v_fma_f32 v178, 0x3f6eb680, v45, -v191
	v_fmamk_f32 v182, v63, 0x3f6eb680, v192
	v_mul_f32_e32 v156, 0x3f65296c, v156
	v_mul_f32_e32 v158, 0xbf763a35, v158
	s_delay_alu instid0(VALU_DEP_4) | instskip(SKIP_4) | instid1(VALU_DEP_4)
	v_dual_mul_f32 v152, 0x3f2c7751, v152 :: v_dual_add_f32 v163, v178, v163
	v_fma_f32 v178, 0xbf1a4643, v50, -v180
	v_add_f32_e32 v182, v182, v7
	v_dual_mul_f32 v7, v190, v69 :: v_dual_mul_f32 v190, 0x3f763a35, v148
	v_fmac_f32_e32 v217, 0xbf1a4643, v56
	v_add_f32_e32 v69, v178, v163
	s_delay_alu instid0(VALU_DEP_4) | instskip(NEXT) | instid1(VALU_DEP_4)
	v_dual_add_f32 v163, v195, v182 :: v_dual_mul_f32 v178, 0xbf4c4adb, v144
	v_fmac_f32_e32 v7, v12, v11
	v_fma_f32 v182, 0xbf1a4643, v46, -v108
	s_delay_alu instid0(VALU_DEP_4) | instskip(NEXT) | instid1(VALU_DEP_4)
	v_mul_f32_e32 v12, v69, v73
	v_mul_f32_e32 v11, v163, v73
	v_fmamk_f32 v73, v72, 0xbf1a4643, v178
	v_fma_f32 v195, 0xbe8c1d8e, v52, -v190
	v_add_f32_e32 v182, v182, v9
	s_delay_alu instid0(VALU_DEP_4) | instskip(NEXT) | instid1(VALU_DEP_4)
	v_dual_fmac_f32 v108, 0xbf1a4643, v46 :: v_dual_fmac_f32 v11, v69, v13
	v_add_f32_e32 v73, v73, v10
	v_fmac_f32_e32 v109, 0xbe8c1d8e, v46
	s_delay_alu instid0(VALU_DEP_4) | instskip(SKIP_4) | instid1(VALU_DEP_4)
	v_add_f32_e32 v182, v195, v182
	v_fma_f32 v195, 0x3f6eb680, v54, -v196
	v_fmac_f32_e32 v183, 0x3f3d2fb0, v54
	v_add_f32_e32 v73, v197, v73
	v_fmamk_f32 v197, v68, 0x3f6eb680, v198
	v_dual_fmac_f32 v187, 0xbf7ba420, v57 :: v_dual_add_f32 v182, v195, v182
	v_fma_f32 v195, 0xbf59a7d5, v56, -v199
	v_fmac_f32_e32 v189, 0x3dbcf732, v58
	s_delay_alu instid0(VALU_DEP_4)
	v_add_f32_e32 v73, v197, v73
	v_fmamk_f32 v197, v66, 0xbf59a7d5, v200
	v_fma_f32 v12, v163, v13, -v12
	v_add_f32_e32 v182, v195, v182
	v_fma_f32 v195, 0x3dbcf732, v57, -v201
	v_mul_f32_e32 v163, 0x3f65296c, v159
	v_add_f32_e32 v73, v197, v73
	v_fmamk_f32 v197, v75, 0x3dbcf732, v202
	s_delay_alu instid0(VALU_DEP_4) | instskip(SKIP_2) | instid1(VALU_DEP_4)
	v_dual_fmac_f32 v133, 0x3f3d2fb0, v57 :: v_dual_add_f32 v182, v195, v182
	v_fma_f32 v195, 0x3f3d2fb0, v58, -v203
	v_fma_f32 v208, 0x3ee437d1, v50, -v163
	v_add_f32_e32 v73, v197, v73
	v_fmamk_f32 v197, v81, 0x3f3d2fb0, v204
	v_fmac_f32_e32 v131, 0x3f6eb680, v58
	v_add_f32_e32 v182, v195, v182
	v_fma_f32 v195, 0xbf7ba420, v45, -v205
	v_fmac_f32_e32 v205, 0xbf7ba420, v45
	v_add_f32_e32 v73, v197, v73
	v_fmamk_f32 v197, v63, 0xbf7ba420, v206
	v_fmac_f32_e32 v129, 0x3dbcf732, v45
	v_fmac_f32_e32 v191, 0x3f6eb680, v45
	v_fma_f32 v71, 0x3f6eb680, v72, -v71
	v_fmac_f32_e32 v169, 0x3ee437d1, v57
	v_add_f32_e32 v73, v197, v73
	v_mul_f32_e32 v197, 0xbf06c442, v144
	v_mul_f32_e32 v144, 0xbe3c28d5, v144
	v_dual_add_f32 v182, v195, v182 :: v_dual_mul_f32 v195, 0x3f65296c, v160
	v_add_f32_e32 v71, v71, v10
	v_fmac_f32_e32 v171, 0xbf59a7d5, v58
	s_delay_alu instid0(VALU_DEP_3)
	v_dual_fmac_f32 v173, 0xbf1a4643, v45 :: v_dual_add_f32 v182, v208, v182
	v_fmamk_f32 v208, v72, 0xbf59a7d5, v197
	v_fmamk_f32 v209, v60, 0x3ee437d1, v195
	v_fmac_f32_e32 v211, 0x3ee437d1, v52
	v_fmac_f32_e32 v135, 0xbe8c1d8e, v56
	v_fma_f32 v61, 0x3ee437d1, v68, -v61
	s_delay_alu instid0(VALU_DEP_4) | instskip(SKIP_2) | instid1(VALU_DEP_3)
	v_dual_add_f32 v208, v208, v10 :: v_dual_add_f32 v73, v209, v73
	v_fmamk_f32 v209, v60, 0xbe8c1d8e, v226
	v_fma_f32 v64, 0x3dbcf732, v66, -v64
	v_dual_fmac_f32 v117, 0x3f3d2fb0, v46 :: v_dual_add_f32 v208, v215, v208
	v_fmamk_f32 v215, v68, 0x3dbcf732, v216
	v_mul_f32_e32 v13, v73, v14
	v_fmac_f32_e32 v37, 0xbe8c1d8e, v57
	v_fma_f32 v59, 0xbf7ba420, v60, -v59
	s_delay_alu instid0(VALU_DEP_4) | instskip(SKIP_4) | instid1(VALU_DEP_4)
	v_dual_fmac_f32 v39, 0xbf59a7d5, v45 :: v_dual_add_f32 v208, v215, v208
	v_fmamk_f32 v215, v66, 0xbf1a4643, v218
	v_fmac_f32_e32 v13, v182, v15
	v_fmac_f32_e32 v41, 0xbf7ba420, v50
	;; [unrolled: 1-line block ×3, first 2 shown]
	v_dual_fmac_f32 v221, 0xbf7ba420, v58 :: v_dual_add_f32 v208, v215, v208
	v_fmamk_f32 v215, v75, 0x3f6eb680, v220
	v_fmac_f32_e32 v164, 0xbe8c1d8e, v54
	v_fmac_f32_e32 v134, 0x3ee437d1, v46
	;; [unrolled: 1-line block ×4, first 2 shown]
	v_dual_add_f32 v208, v215, v208 :: v_dual_fmamk_f32 v215, v81, 0xbf7ba420, v222
	v_fmac_f32_e32 v118, 0xbf59a7d5, v57
	v_fmac_f32_e32 v112, 0x3ee437d1, v45
	;; [unrolled: 1-line block ×4, first 2 shown]
	v_add_f32_e32 v208, v215, v208
	v_fmamk_f32 v215, v63, 0x3f3d2fb0, v224
	v_dual_fmac_f32 v96, 0x3f6eb680, v50 :: v_dual_fmac_f32 v167, 0x3f6eb680, v56
	v_fmac_f32_e32 v38, 0xbf1a4643, v58
	v_fmac_f32_e32 v176, 0x3f3d2fb0, v50
	s_delay_alu instid0(VALU_DEP_4) | instskip(SKIP_2) | instid1(VALU_DEP_3)
	v_dual_add_f32 v208, v215, v208 :: v_dual_mul_f32 v215, v182, v14
	v_fmac_f32_e32 v150, 0x3dbcf732, v46
	v_fmac_f32_e32 v44, 0x3ee437d1, v54
	v_dual_fmac_f32 v136, 0xbf7ba420, v54 :: v_dual_add_f32 v69, v209, v208
	s_delay_alu instid0(VALU_DEP_4) | instskip(SKIP_2) | instid1(VALU_DEP_4)
	v_fma_f32 v14, v73, v15, -v215
	v_dual_mul_f32 v73, v210, v16 :: v_dual_fmac_f32 v40, 0x3f6eb680, v46
	v_fmac_f32_e32 v42, 0x3f3d2fb0, v52
	v_dual_mul_f32 v15, v69, v16 :: v_dual_fmac_f32 v180, 0xbf1a4643, v50
	s_delay_alu instid0(VALU_DEP_3) | instskip(SKIP_1) | instid1(VALU_DEP_3)
	v_fma_f32 v16, v69, v17, -v73
	v_dual_mul_f32 v73, 0x3eb8f4ab, v146 :: v_dual_mul_f32 v146, 0x3eb8f4ab, v148
	v_fmac_f32_e32 v15, v210, v17
	v_fma_f32 v17, 0xbf7ba420, v46, -v145
	v_fmac_f32_e32 v145, 0xbf7ba420, v46
	v_fmac_f32_e32 v48, 0x3dbcf732, v56
	v_fma_f32 v182, 0x3f6eb680, v52, -v146
	s_delay_alu instid0(VALU_DEP_4) | instskip(NEXT) | instid1(VALU_DEP_4)
	v_dual_fmac_f32 v146, 0x3f6eb680, v52 :: v_dual_add_f32 v17, v17, v9
	v_add_f32_e32 v145, v145, v9
	s_delay_alu instid0(VALU_DEP_2) | instskip(SKIP_1) | instid1(VALU_DEP_3)
	v_add_f32_e32 v17, v182, v17
	v_fma_f32 v182, 0xbf59a7d5, v54, -v149
	v_add_f32_e32 v145, v146, v145
	v_fmac_f32_e32 v149, 0xbf59a7d5, v54
	s_delay_alu instid0(VALU_DEP_3) | instskip(SKIP_1) | instid1(VALU_DEP_3)
	v_dual_mul_f32 v146, 0x3f7ee86f, v159 :: v_dual_add_f32 v17, v182, v17
	v_fma_f32 v182, 0x3f3d2fb0, v56, -v153
	v_add_f32_e32 v145, v149, v145
	v_fmamk_f32 v69, v72, 0xbf7ba420, v144
	v_fma_f32 v144, 0xbf7ba420, v72, -v144
	v_fmac_f32_e32 v153, 0x3f3d2fb0, v56
	v_add_f32_e32 v17, v182, v17
	v_fma_f32 v182, 0xbf1a4643, v57, -v155
	v_dual_add_f32 v69, v69, v10 :: v_dual_fmamk_f32 v148, v70, 0x3f6eb680, v73
	s_delay_alu instid0(VALU_DEP_4) | instskip(SKIP_1) | instid1(VALU_DEP_4)
	v_add_f32_e32 v145, v153, v145
	v_fma_f32 v73, 0x3f6eb680, v70, -v73
	v_add_f32_e32 v17, v182, v17
	v_fma_f32 v182, 0x3ee437d1, v58, -v156
	v_dual_add_f32 v144, v144, v10 :: v_dual_fmac_f32 v155, 0xbf1a4643, v57
	v_add_f32_e32 v69, v148, v69
	v_fma_f32 v149, 0x3dbcf732, v50, -v146
	s_delay_alu instid0(VALU_DEP_4) | instskip(SKIP_4) | instid1(VALU_DEP_4)
	v_add_f32_e32 v17, v182, v17
	v_fma_f32 v182, 0xbe8c1d8e, v45, -v158
	v_add_f32_e32 v73, v73, v144
	v_fma_f32 v144, 0xbf59a7d5, v68, -v151
	v_dual_mul_f32 v154, 0x3f65296c, v154 :: v_dual_add_f32 v145, v155, v145
	v_dual_add_f32 v17, v182, v17 :: v_dual_fmamk_f32 v148, v68, 0xbf59a7d5, v151
	s_delay_alu instid0(VALU_DEP_3) | instskip(NEXT) | instid1(VALU_DEP_2)
	v_dual_add_f32 v73, v144, v73 :: v_dual_fmac_f32 v190, 0xbe8c1d8e, v52
	v_dual_fmac_f32 v196, 0x3f6eb680, v54 :: v_dual_add_f32 v149, v149, v17
	s_delay_alu instid0(VALU_DEP_3) | instskip(NEXT) | instid1(VALU_DEP_1)
	v_dual_add_f32 v69, v148, v69 :: v_dual_fmamk_f32 v148, v66, 0x3f3d2fb0, v152
	v_dual_add_f32 v69, v148, v69 :: v_dual_fmamk_f32 v148, v75, 0xbf1a4643, v147
	s_delay_alu instid0(VALU_DEP_1) | instskip(NEXT) | instid1(VALU_DEP_1)
	v_dual_add_f32 v69, v148, v69 :: v_dual_fmamk_f32 v148, v81, 0x3ee437d1, v154
	v_dual_add_f32 v69, v148, v69 :: v_dual_fmamk_f32 v148, v63, 0xbe8c1d8e, v157
	s_delay_alu instid0(VALU_DEP_1) | instskip(NEXT) | instid1(VALU_DEP_1)
	v_dual_add_f32 v69, v148, v69 :: v_dual_mul_f32 v148, 0x3f7ee86f, v160
	v_fmamk_f32 v151, v60, 0x3dbcf732, v148
	s_delay_alu instid0(VALU_DEP_1) | instskip(SKIP_1) | instid1(VALU_DEP_2)
	v_add_f32_e32 v69, v151, v69
	v_fma_f32 v144, 0x3f3d2fb0, v66, -v152
	v_mul_f32_e32 v17, v69, v18
	s_delay_alu instid0(VALU_DEP_2) | instskip(SKIP_2) | instid1(VALU_DEP_4)
	v_add_f32_e32 v73, v144, v73
	v_fma_f32 v144, 0xbf1a4643, v75, -v147
	v_mul_f32_e32 v147, v149, v18
	v_dual_fmac_f32 v214, 0x3dbcf732, v54 :: v_dual_fmac_f32 v17, v149, v20
	v_fmac_f32_e32 v158, 0xbe8c1d8e, v45
	s_delay_alu instid0(VALU_DEP_4) | instskip(SKIP_3) | instid1(VALU_DEP_3)
	v_add_f32_e32 v73, v144, v73
	v_fma_f32 v144, 0x3ee437d1, v81, -v154
	v_fma_f32 v18, v69, v20, -v147
	;; [unrolled: 1-line block ×3, first 2 shown]
	v_dual_add_f32 v69, v144, v73 :: v_dual_fmac_f32 v156, 0x3ee437d1, v58
	v_fma_f32 v144, 0x3ee437d1, v70, -v212
	s_delay_alu instid0(VALU_DEP_3) | instskip(NEXT) | instid1(VALU_DEP_3)
	v_add_f32_e32 v20, v20, v10
	v_add_f32_e32 v145, v156, v145
	s_delay_alu instid0(VALU_DEP_2) | instskip(SKIP_1) | instid1(VALU_DEP_3)
	v_dual_add_f32 v20, v144, v20 :: v_dual_add_f32 v147, v207, v9
	v_fma_f32 v144, 0x3dbcf732, v68, -v216
	v_add_f32_e32 v73, v158, v145
	v_fma_f32 v145, 0xbe8c1d8e, v63, -v157
	s_delay_alu instid0(VALU_DEP_3) | instskip(SKIP_1) | instid1(VALU_DEP_3)
	v_add_f32_e32 v20, v144, v20
	v_fma_f32 v144, 0xbf1a4643, v66, -v218
	v_add_f32_e32 v69, v145, v69
	v_add_f32_e32 v145, v211, v147
	v_fma_f32 v147, 0x3dbcf732, v60, -v148
	s_delay_alu instid0(VALU_DEP_2) | instskip(NEXT) | instid1(VALU_DEP_2)
	v_dual_fmac_f32 v146, 0x3dbcf732, v50 :: v_dual_add_f32 v145, v214, v145
	v_add_f32_e32 v69, v147, v69
	s_delay_alu instid0(VALU_DEP_2) | instskip(SKIP_1) | instid1(VALU_DEP_4)
	v_add_f32_e32 v73, v146, v73
	v_fma_f32 v147, 0xbf7ba420, v81, -v222
	v_dual_add_f32 v145, v217, v145 :: v_dual_add_f32 v20, v144, v20
	v_fma_f32 v144, 0x3f6eb680, v75, -v220
	s_delay_alu instid0(VALU_DEP_4) | instskip(NEXT) | instid1(VALU_DEP_2)
	v_mul_f32_e32 v146, v73, v19
	v_dual_mul_f32 v19, v69, v19 :: v_dual_add_f32 v144, v144, v20
	s_delay_alu instid0(VALU_DEP_2) | instskip(NEXT) | instid1(VALU_DEP_2)
	v_fma_f32 v20, v69, v22, -v146
	v_fmac_f32_e32 v19, v73, v22
	v_add_f32_e32 v69, v219, v145
	v_fma_f32 v73, 0x3f3d2fb0, v63, -v224
	v_add_f32_e32 v22, v147, v144
	v_fma_f32 v144, 0xbf1a4643, v72, -v178
	v_fma_f32 v145, 0xbe8c1d8e, v70, -v194
	v_add_f32_e32 v69, v221, v69
	s_delay_alu instid0(VALU_DEP_4) | instskip(NEXT) | instid1(VALU_DEP_4)
	v_dual_fmac_f32 v223, 0x3f3d2fb0, v45 :: v_dual_add_f32 v22, v73, v22
	v_add_f32_e32 v144, v144, v10
	v_add_f32_e32 v73, v108, v9
	s_delay_alu instid0(VALU_DEP_2) | instskip(SKIP_3) | instid1(VALU_DEP_3)
	v_dual_add_f32 v69, v223, v69 :: v_dual_add_f32 v108, v145, v144
	v_fma_f32 v144, 0x3f6eb680, v68, -v198
	v_fmac_f32_e32 v225, 0xbe8c1d8e, v50
	v_fma_f32 v145, 0xbe8c1d8e, v60, -v226
	v_dual_add_f32 v73, v190, v73 :: v_dual_add_f32 v108, v144, v108
	v_fma_f32 v144, 0xbf59a7d5, v66, -v200
	s_delay_alu instid0(VALU_DEP_3) | instskip(NEXT) | instid1(VALU_DEP_2)
	v_add_f32_e32 v22, v145, v22
	v_dual_add_f32 v69, v225, v69 :: v_dual_add_f32 v108, v144, v108
	v_fma_f32 v144, 0x3dbcf732, v75, -v202
	s_delay_alu instid0(VALU_DEP_2) | instskip(NEXT) | instid1(VALU_DEP_2)
	v_mul_f32_e32 v145, v69, v21
	v_dual_mul_f32 v21, v22, v21 :: v_dual_add_f32 v108, v144, v108
	v_fma_f32 v144, 0x3f3d2fb0, v81, -v204
	v_fmac_f32_e32 v201, 0x3dbcf732, v57
	s_delay_alu instid0(VALU_DEP_4) | instskip(NEXT) | instid1(VALU_DEP_4)
	v_fma_f32 v22, v22, v24, -v145
	v_fmac_f32_e32 v21, v69, v24
	v_fma_f32 v69, 0xbf7ba420, v63, -v206
	v_add_f32_e32 v24, v144, v108
	v_fma_f32 v108, 0xbe8c1d8e, v72, -v175
	v_add_f32_e32 v73, v196, v73
	v_fmac_f32_e32 v199, 0xbf59a7d5, v56
	v_fma_f32 v144, 0xbf59a7d5, v70, -v165
	v_add_f32_e32 v24, v69, v24
	v_dual_add_f32 v108, v108, v10 :: v_dual_add_f32 v69, v109, v9
	s_delay_alu instid0(VALU_DEP_4) | instskip(SKIP_1) | instid1(VALU_DEP_3)
	v_add_f32_e32 v73, v199, v73
	v_fma_f32 v109, 0x3f3d2fb0, v68, -v181
	v_add_f32_e32 v108, v144, v108
	v_fma_f32 v144, 0x3ee437d1, v60, -v195
	s_delay_alu instid0(VALU_DEP_4) | instskip(NEXT) | instid1(VALU_DEP_3)
	v_add_f32_e32 v73, v201, v73
	v_add_f32_e32 v108, v109, v108
	s_delay_alu instid0(VALU_DEP_3) | instskip(SKIP_1) | instid1(VALU_DEP_1)
	v_add_f32_e32 v24, v144, v24
	v_fma_f32 v109, 0x3ee437d1, v66, -v184
	v_dual_fmac_f32 v203, 0x3f3d2fb0, v58 :: v_dual_add_f32 v108, v109, v108
	v_fma_f32 v109, 0xbf7ba420, v75, -v186
	s_delay_alu instid0(VALU_DEP_1) | instskip(NEXT) | instid1(VALU_DEP_1)
	v_dual_add_f32 v73, v203, v73 :: v_dual_add_f32 v108, v109, v108
	v_add_f32_e32 v73, v205, v73
	v_fma_f32 v109, 0x3dbcf732, v81, -v188
	v_fmac_f32_e32 v163, 0x3ee437d1, v50
	s_delay_alu instid0(VALU_DEP_1) | instskip(NEXT) | instid1(VALU_DEP_1)
	v_add_f32_e32 v73, v163, v73
	v_mul_f32_e32 v144, v73, v23
	v_mul_f32_e32 v23, v24, v23
	s_delay_alu instid0(VALU_DEP_2) | instskip(NEXT) | instid1(VALU_DEP_2)
	v_fma_f32 v24, v24, v26, -v144
	v_fmac_f32_e32 v23, v73, v26
	v_fma_f32 v73, 0x3dbcf732, v72, -v111
	v_add_f32_e32 v26, v109, v108
	v_fma_f32 v108, 0x3f6eb680, v63, -v192
	v_fma_f32 v109, 0xbf7ba420, v70, -v162
	v_fmac_f32_e32 v179, 0xbf59a7d5, v52
	v_add_f32_e32 v73, v73, v10
	s_delay_alu instid0(VALU_DEP_4) | instskip(SKIP_1) | instid1(VALU_DEP_3)
	v_dual_add_f32 v111, v150, v9 :: v_dual_add_f32 v26, v108, v26
	v_fma_f32 v108, 0xbe8c1d8e, v68, -v166
	v_add_f32_e32 v73, v109, v73
	s_delay_alu instid0(VALU_DEP_3) | instskip(SKIP_2) | instid1(VALU_DEP_4)
	v_add_f32_e32 v109, v161, v111
	v_fma_f32 v111, 0xbf1a4643, v60, -v193
	v_fmac_f32_e32 v185, 0x3ee437d1, v56
	v_add_f32_e32 v73, v108, v73
	v_fma_f32 v108, 0x3f6eb680, v66, -v168
	s_delay_alu instid0(VALU_DEP_4) | instskip(NEXT) | instid1(VALU_DEP_2)
	v_dual_add_f32 v26, v111, v26 :: v_dual_add_f32 v109, v164, v109
	v_add_f32_e32 v73, v108, v73
	v_fma_f32 v108, 0x3ee437d1, v75, -v170
	s_delay_alu instid0(VALU_DEP_3) | instskip(NEXT) | instid1(VALU_DEP_2)
	v_add_f32_e32 v109, v167, v109
	v_add_f32_e32 v73, v108, v73
	v_fma_f32 v108, 0xbf59a7d5, v81, -v172
	s_delay_alu instid0(VALU_DEP_3) | instskip(NEXT) | instid1(VALU_DEP_2)
	v_add_f32_e32 v109, v169, v109
	v_add_f32_e32 v73, v108, v73
	v_fma_f32 v108, 0x3ee437d1, v72, -v142
	v_add_f32_e32 v69, v179, v69
	v_fma_f32 v142, 0xbf1a4643, v70, -v143
	s_delay_alu instid0(VALU_DEP_3) | instskip(NEXT) | instid1(VALU_DEP_3)
	v_dual_add_f32 v109, v171, v109 :: v_dual_add_f32 v108, v108, v10
	v_add_f32_e32 v69, v183, v69
	s_delay_alu instid0(VALU_DEP_1) | instskip(NEXT) | instid1(VALU_DEP_1)
	v_add_f32_e32 v69, v185, v69
	v_add_f32_e32 v69, v187, v69
	s_delay_alu instid0(VALU_DEP_1) | instskip(NEXT) | instid1(VALU_DEP_1)
	v_add_f32_e32 v69, v189, v69
	v_add_f32_e32 v69, v191, v69
	s_delay_alu instid0(VALU_DEP_1) | instskip(NEXT) | instid1(VALU_DEP_1)
	v_add_f32_e32 v69, v180, v69
	v_mul_f32_e32 v111, v69, v25
	v_mul_f32_e32 v25, v26, v25
	s_delay_alu instid0(VALU_DEP_2) | instskip(SKIP_1) | instid1(VALU_DEP_3)
	v_fma_f32 v26, v26, v97, -v111
	v_fma_f32 v111, 0xbf1a4643, v63, -v174
	v_fmac_f32_e32 v25, v69, v97
	v_add_f32_e32 v97, v142, v108
	v_fma_f32 v108, 0xbf7ba420, v68, -v141
	s_delay_alu instid0(VALU_DEP_4) | instskip(SKIP_2) | instid1(VALU_DEP_4)
	v_add_f32_e32 v69, v111, v73
	v_fma_f32 v111, 0x3f3d2fb0, v60, -v177
	v_add_f32_e32 v73, v173, v109
	v_add_f32_e32 v97, v108, v97
	v_fma_f32 v108, 0xbe8c1d8e, v66, -v140
	v_add_f32_e32 v109, v134, v9
	v_add_f32_e32 v69, v111, v69
	;; [unrolled: 1-line block ×3, first 2 shown]
	v_fma_f32 v111, 0x3f3d2fb0, v75, -v139
	s_delay_alu instid0(VALU_DEP_3) | instskip(NEXT) | instid1(VALU_DEP_1)
	v_dual_add_f32 v97, v108, v97 :: v_dual_mul_f32 v108, v69, v95
	v_dual_mul_f32 v134, v73, v95 :: v_dual_add_f32 v95, v111, v97
	v_fma_f32 v97, 0x3f6eb680, v81, -v138
	s_delay_alu instid0(VALU_DEP_3) | instskip(SKIP_2) | instid1(VALU_DEP_2)
	v_fmac_f32_e32 v108, v73, v94
	v_fma_f32 v73, 0x3f3d2fb0, v72, -v128
	v_fma_f32 v72, 0x3ee437d1, v63, -v116
	v_add_f32_e32 v73, v73, v10
	v_add_f32_e32 v10, v33, v10
	s_delay_alu instid0(VALU_DEP_1) | instskip(NEXT) | instid1(VALU_DEP_1)
	v_dual_add_f32 v10, v10, v35 :: v_dual_add_f32 v35, v121, v9
	v_add_f32_e32 v10, v10, v29
	s_delay_alu instid0(VALU_DEP_1) | instskip(SKIP_2) | instid1(VALU_DEP_1)
	v_add_f32_e32 v10, v10, v31
	s_wait_dscnt 0x0
	v_mul_f32_e32 v31, v84, v87
	v_dual_add_f32 v10, v10, v43 :: v_dual_fmac_f32 v31, v85, v86
	s_delay_alu instid0(VALU_DEP_1) | instskip(NEXT) | instid1(VALU_DEP_1)
	v_add_f32_e32 v10, v10, v27
	v_dual_add_f32 v10, v10, v47 :: v_dual_fmac_f32 v137, 0xbf1a4643, v52
	s_delay_alu instid0(VALU_DEP_1) | instskip(NEXT) | instid1(VALU_DEP_1)
	v_add_f32_e32 v10, v10, v49
	v_dual_add_f32 v109, v137, v109 :: v_dual_add_f32 v10, v10, v51
	s_delay_alu instid0(VALU_DEP_1) | instskip(NEXT) | instid1(VALU_DEP_1)
	v_add_f32_e32 v109, v136, v109
	v_add_f32_e32 v111, v135, v109
	v_fma_f32 v109, v69, v94, -v134
	v_add_f32_e32 v69, v97, v95
	v_fma_f32 v95, 0x3dbcf732, v70, -v127
	v_fma_f32 v70, 0x3f3d2fb0, v70, -v67
	v_add_f32_e32 v94, v133, v111
	v_add_f32_e32 v111, v117, v9
	;; [unrolled: 1-line block ×4, first 2 shown]
	v_fma_f32 v95, 0xbf1a4643, v68, -v126
	v_add_f32_e32 v70, v70, v71
	v_fma_f32 v71, 0x3f6eb680, v60, -v115
	v_add_f32_e32 v9, v42, v9
	v_mul_lo_u32 v40, v107, v65
	v_add_f32_e32 v73, v95, v73
	v_fma_f32 v95, 0xbf7ba420, v66, -v125
	v_add_f32_e32 v61, v61, v70
	v_add_f32_e32 v9, v44, v9
	v_fma_f32 v97, 0x3dbcf732, v63, -v132
	v_add_f32_e32 v111, v122, v111
	;; [unrolled: 3-line block ×3, first 2 shown]
	v_add_f32_e32 v44, v48, v9
	v_lshrrev_b32_e32 v9, 2, v40
	v_add_f32_e32 v48, v10, v53
	v_add_f32_e32 v73, v95, v73
	v_fma_f32 v95, 0xbe8c1d8e, v81, -v123
	v_add_f32_e32 v69, v97, v69
	v_and_b32_e32 v9, 0xf8, v9
	v_add_f32_e32 v97, v120, v111
	v_fma_f32 v111, 0xbf59a7d5, v60, -v130
	v_dual_add_f32 v73, v95, v73 :: v_dual_mul_f32 v60, v85, v87
	s_delay_alu instid0(VALU_DEP_4) | instskip(NEXT) | instid1(VALU_DEP_2)
	v_add_nc_u32_e32 v46, s4, v9
	v_add_f32_e32 v72, v72, v73
	s_delay_alu instid0(VALU_DEP_1) | instskip(SKIP_2) | instid1(VALU_DEP_2)
	v_add_f32_e32 v70, v71, v72
	v_fma_f32 v71, 0xbe8c1d8e, v75, -v74
	v_fma_f32 v72, 0xbf1a4643, v81, -v80
	v_add_f32_e32 v33, v71, v61
	v_fma_f32 v61, 0xbf59a7d5, v63, -v62
	s_delay_alu instid0(VALU_DEP_2) | instskip(NEXT) | instid1(VALU_DEP_1)
	v_add_f32_e32 v33, v72, v33
	v_add_f32_e32 v29, v61, v33
	;; [unrolled: 1-line block ×3, first 2 shown]
	v_fma_f32 v35, v84, v86, -v60
	s_delay_alu instid0(VALU_DEP_2) | instskip(NEXT) | instid1(VALU_DEP_1)
	v_add_f32_e32 v33, v33, v105
	v_add_f32_e32 v33, v33, v104
	s_delay_alu instid0(VALU_DEP_1) | instskip(SKIP_1) | instid1(VALU_DEP_2)
	v_add_f32_e32 v27, v33, v103
	v_lshrrev_b32_e32 v33, 7, v40
	v_dual_add_f32 v27, v27, v102 :: v_dual_and_b32 v40, 31, v40
	s_delay_alu instid0(VALU_DEP_2) | instskip(NEXT) | instid1(VALU_DEP_2)
	v_and_b32_e32 v33, 0xf8, v33
	v_lshl_add_u32 v40, v40, 3, 0
	s_delay_alu instid0(VALU_DEP_3) | instskip(NEXT) | instid1(VALU_DEP_3)
	v_add_f32_e32 v27, v27, v101
	v_add_nc_u32_e32 v33, s4, v33
	ds_load_b64 v[9:10], v33 offset:512
	ds_load_b64 v[42:43], v40 offset:16184
	;; [unrolled: 1-line block ×3, first 2 shown]
	v_add_f32_e32 v27, v27, v100
	v_add_f32_e32 v33, v37, v44
	;; [unrolled: 1-line block ×3, first 2 shown]
	s_delay_alu instid0(VALU_DEP_3) | instskip(NEXT) | instid1(VALU_DEP_2)
	v_add_f32_e32 v27, v27, v99
	v_dual_add_f32 v33, v38, v33 :: v_dual_add_f32 v36, v37, v36
	v_mul_f32_e32 v38, v31, v79
	s_delay_alu instid0(VALU_DEP_3) | instskip(NEXT) | instid1(VALU_DEP_3)
	v_add_f32_e32 v27, v27, v98
	v_add_f32_e32 v33, v39, v33
	;; [unrolled: 1-line block ×4, first 2 shown]
	v_fma_f32 v40, v78, v35, -v38
	v_add_f32_e32 v27, v27, v93
	v_add_f32_e32 v41, v41, v33
	v_mul_f32_e32 v33, v35, v79
	s_wait_dscnt 0x0
	v_dual_add_f32 v29, v29, v32 :: v_dual_mul_f32 v32, v43, v47
	v_dual_add_f32 v27, v27, v92 :: v_dual_mul_f32 v34, v42, v47
	s_delay_alu instid0(VALU_DEP_2) | instskip(SKIP_1) | instid1(VALU_DEP_3)
	v_dual_fmac_f32 v33, v78, v31 :: v_dual_add_f32 v36, v29, v30
	v_mad_co_u64_u32 v[29:30], null, s14, v106, 0
	v_add_f32_e32 v27, v27, v91
	v_fma_f32 v35, v42, v46, -v32
	v_mad_u32_u24 v42, 0x121, v0, v107
	v_dual_fmac_f32 v34, v43, v46 :: v_dual_mul_f32 v43, v41, v33
	s_delay_alu instid0(VALU_DEP_4) | instskip(NEXT) | instid1(VALU_DEP_4)
	v_add_f32_e32 v27, v27, v90
	v_mul_f32_e32 v37, v35, v10
	s_delay_alu instid0(VALU_DEP_4) | instskip(NEXT) | instid1(VALU_DEP_3)
	v_mad_co_u64_u32 v[31:32], null, s12, v42, 0
	v_dual_mov_b32 v0, v30 :: v_dual_add_f32 v27, v27, v89
	v_mul_f32_e32 v10, v34, v10
	s_delay_alu instid0(VALU_DEP_4) | instskip(NEXT) | instid1(VALU_DEP_3)
	v_dual_fmac_f32 v37, v9, v34 :: v_dual_add_f32 v34, v36, v28
	v_dual_add_f32 v38, v27, v88 :: v_dual_add_nc_u32 v45, 17, v42
	s_delay_alu instid0(VALU_DEP_4) | instskip(NEXT) | instid1(VALU_DEP_4)
	v_mad_co_u64_u32 v[27:28], null, s15, v106, v[0:1]
	v_fma_f32 v44, v9, v35, -v10
	s_delay_alu instid0(VALU_DEP_3) | instskip(SKIP_3) | instid1(VALU_DEP_4)
	v_dual_mov_b32 v9, v32 :: v_dual_mul_f32 v30, v38, v37
	v_mul_f32_e32 v28, v39, v33
	v_mul_f32_e32 v33, v34, v37
	v_mad_co_u64_u32 v[35:36], null, s12, v45, 0
	v_mad_co_u64_u32 v[9:10], null, s13, v42, v[9:10]
	v_fma_f32 v34, v34, v44, -v30
	v_dual_mov_b32 v30, v27 :: v_dual_add_nc_u32 v27, 34, v42
	s_delay_alu instid0(VALU_DEP_4) | instskip(SKIP_2) | instid1(VALU_DEP_4)
	v_dual_fmac_f32 v33, v38, v44 :: v_dual_mov_b32 v0, v36
	v_add_f32_e32 v94, v131, v94
	v_mov_b32_e32 v32, v9
	v_mad_co_u64_u32 v[37:38], null, s12, v27, 0
	v_lshlrev_b64_e32 v[9:10], 3, v[29:30]
	v_mad_co_u64_u32 v[29:30], null, s13, v45, v[0:1]
	v_dual_fmac_f32 v28, v41, v40 :: v_dual_add_nc_u32 v45, 51, v42
	v_add_f32_e32 v94, v129, v94
	s_delay_alu instid0(VALU_DEP_4)
	v_add_co_u32 v44, vcc_lo, s0, v9
	v_mov_b32_e32 v0, v38
	s_wait_alu 0xfffd
	v_add_co_ci_u32_e32 v46, vcc_lo, s1, v10, vcc_lo
	v_lshlrev_b64_e32 v[9:10], 3, v[31:32]
	v_mov_b32_e32 v36, v29
	v_mad_co_u64_u32 v[30:31], null, s13, v27, v[0:1]
	v_mad_co_u64_u32 v[31:32], null, s12, v45, 0
	s_delay_alu instid0(VALU_DEP_4) | instskip(SKIP_3) | instid1(VALU_DEP_4)
	v_add_co_u32 v9, vcc_lo, v44, v9
	s_wait_alu 0xfffd
	v_add_co_ci_u32_e32 v10, vcc_lo, v46, v10, vcc_lo
	v_add_nc_u32_e32 v27, 0x44, v42
	v_dual_fmac_f32 v119, 0xbf7ba420, v56 :: v_dual_mov_b32 v0, v32
	v_mov_b32_e32 v38, v30
	global_store_b64 v[9:10], v[33:34], off
	v_mad_co_u64_u32 v[33:34], null, s12, v27, 0
	v_add_nc_u32_e32 v30, 0x55, v42
	v_lshlrev_b64_e32 v[9:10], 3, v[35:36]
	v_add_f32_e32 v97, v119, v97
	v_fma_f32 v29, v39, v40, -v43
	v_add_nc_u32_e32 v43, 0x66, v42
	v_lshlrev_b64_e32 v[35:36], 3, v[37:38]
	v_mad_co_u64_u32 v[37:38], null, s13, v45, v[0:1]
	v_mov_b32_e32 v0, v34
	v_mad_co_u64_u32 v[38:39], null, s12, v30, 0
	v_add_f32_e32 v97, v118, v97
	v_add_co_u32 v9, vcc_lo, v44, v9
	v_mad_co_u64_u32 v[40:41], null, s12, v43, 0
	v_fmac_f32_e32 v113, 0xbe8c1d8e, v58
	s_wait_alu 0xfffd
	v_add_co_ci_u32_e32 v10, vcc_lo, v46, v10, vcc_lo
	v_add_co_u32 v34, vcc_lo, v44, v35
	s_wait_alu 0xfffd
	v_add_co_ci_u32_e32 v35, vcc_lo, v46, v36, vcc_lo
	v_mov_b32_e32 v32, v37
	v_mad_co_u64_u32 v[36:37], null, s13, v27, v[0:1]
	v_dual_mov_b32 v0, v39 :: v_dual_add_f32 v95, v113, v97
	v_dual_add_f32 v94, v110, v94 :: v_dual_add_f32 v69, v111, v69
	s_delay_alu instid0(VALU_DEP_1) | instskip(NEXT) | instid1(VALU_DEP_1)
	v_dual_add_f32 v73, v112, v95 :: v_dual_mul_f32 v110, v94, v76
	v_dual_mul_f32 v67, v69, v76 :: v_dual_add_f32 v66, v96, v73
	s_delay_alu instid0(VALU_DEP_2) | instskip(SKIP_1) | instid1(VALU_DEP_3)
	v_fma_f32 v68, v69, v82, -v110
	v_mul_f32_e32 v69, v70, v83
	v_fmac_f32_e32 v67, v94, v82
	s_delay_alu instid0(VALU_DEP_4) | instskip(NEXT) | instid1(VALU_DEP_3)
	v_mul_f32_e32 v64, v66, v83
	v_fmac_f32_e32 v69, v66, v77
	s_delay_alu instid0(VALU_DEP_2)
	v_fma_f32 v70, v70, v77, -v64
	s_clause 0x1
	global_store_b64 v[9:10], v[28:29], off
	global_store_b64 v[34:35], v[69:70], off
	v_mov_b32_e32 v34, v36
	v_mad_co_u64_u32 v[27:28], null, s13, v30, v[0:1]
	v_mov_b32_e32 v0, v41
	v_lshlrev_b64_e32 v[9:10], 3, v[31:32]
	s_delay_alu instid0(VALU_DEP_4) | instskip(SKIP_4) | instid1(VALU_DEP_4)
	v_lshlrev_b64_e32 v[28:29], 3, v[33:34]
	v_add_nc_u32_e32 v33, 0x77, v42
	v_add_nc_u32_e32 v35, 0x88, v42
	v_mad_co_u64_u32 v[30:31], null, s13, v43, v[0:1]
	v_add_co_u32 v9, vcc_lo, v44, v9
	v_mad_co_u64_u32 v[31:32], null, s12, v33, 0
	s_wait_alu 0xfffd
	v_add_co_ci_u32_e32 v10, vcc_lo, v46, v10, vcc_lo
	v_mov_b32_e32 v39, v27
	v_add_co_u32 v27, vcc_lo, v44, v28
	s_wait_alu 0xfffd
	v_add_co_ci_u32_e32 v28, vcc_lo, v46, v29, vcc_lo
	v_mov_b32_e32 v41, v30
	v_mad_co_u64_u32 v[29:30], null, s12, v35, 0
	v_mov_b32_e32 v0, v32
	global_store_b64 v[9:10], v[67:68], off
	v_lshlrev_b64_e32 v[9:10], 3, v[38:39]
	v_add_nc_u32_e32 v38, 0x99, v42
	global_store_b64 v[27:28], v[108:109], off
	v_mad_co_u64_u32 v[32:33], null, s13, v33, v[0:1]
	v_mov_b32_e32 v0, v30
	v_lshlrev_b64_e32 v[27:28], 3, v[40:41]
	v_mad_co_u64_u32 v[33:34], null, s12, v38, 0
	v_add_nc_u32_e32 v39, 0xaa, v42
	v_add_co_u32 v9, vcc_lo, v44, v9
	v_mad_co_u64_u32 v[35:36], null, s13, v35, v[0:1]
	s_wait_alu 0xfffd
	v_add_co_ci_u32_e32 v10, vcc_lo, v46, v10, vcc_lo
	v_mad_co_u64_u32 v[36:37], null, s12, v39, 0
	v_add_co_u32 v27, vcc_lo, v44, v27
	s_wait_alu 0xfffd
	v_add_co_ci_u32_e32 v28, vcc_lo, v46, v28, vcc_lo
	v_mov_b32_e32 v0, v34
	global_store_b64 v[9:10], v[25:26], off
	v_lshlrev_b64_e32 v[9:10], 3, v[31:32]
	global_store_b64 v[27:28], v[23:24], off
	v_mov_b32_e32 v30, v35
	v_mad_co_u64_u32 v[23:24], null, s13, v38, v[0:1]
	v_dual_mov_b32 v0, v37 :: v_dual_add_nc_u32 v31, 0xbb, v42
	s_delay_alu instid0(VALU_DEP_3) | instskip(SKIP_1) | instid1(VALU_DEP_3)
	v_lshlrev_b64_e32 v[24:25], 3, v[29:30]
	v_add_co_u32 v9, vcc_lo, v44, v9
	v_mad_co_u64_u32 v[26:27], null, s13, v39, v[0:1]
	s_delay_alu instid0(VALU_DEP_4)
	v_mad_co_u64_u32 v[27:28], null, s12, v31, 0
	s_wait_alu 0xfffd
	v_add_co_ci_u32_e32 v10, vcc_lo, v46, v10, vcc_lo
	v_mov_b32_e32 v34, v23
	v_add_co_u32 v23, vcc_lo, v44, v24
	s_wait_alu 0xfffd
	v_add_co_ci_u32_e32 v24, vcc_lo, v46, v25, vcc_lo
	v_dual_mov_b32 v37, v26 :: v_dual_add_nc_u32 v26, 0xee, v42
	v_mov_b32_e32 v0, v28
	global_store_b64 v[9:10], v[21:22], off
	v_lshlrev_b64_e32 v[9:10], 3, v[33:34]
	global_store_b64 v[23:24], v[19:20], off
	v_lshlrev_b64_e32 v[19:20], 3, v[36:37]
	v_mad_co_u64_u32 v[21:22], null, s13, v31, v[0:1]
	v_add_nc_u32_e32 v23, 0xcc, v42
	v_add_co_u32 v9, vcc_lo, v44, v9
	s_wait_alu 0xfffd
	v_add_co_ci_u32_e32 v10, vcc_lo, v46, v10, vcc_lo
	v_add_co_u32 v19, vcc_lo, v44, v19
	s_wait_alu 0xfffd
	v_add_co_ci_u32_e32 v20, vcc_lo, v46, v20, vcc_lo
	v_mov_b32_e32 v28, v21
	v_mad_co_u64_u32 v[21:22], null, s12, v23, 0
	v_add_nc_u32_e32 v24, 0xdd, v42
	s_clause 0x1
	global_store_b64 v[9:10], v[17:18], off
	global_store_b64 v[19:20], v[15:16], off
	v_mad_co_u64_u32 v[17:18], null, s12, v26, 0
	v_mad_co_u64_u32 v[15:16], null, s12, v24, 0
	v_mov_b32_e32 v0, v22
	v_lshlrev_b64_e32 v[9:10], 3, v[27:28]
	v_add_nc_u32_e32 v28, 0xff, v42
	v_add_nc_u32_e32 v29, 0x110, v42
	s_delay_alu instid0(VALU_DEP_4) | instskip(SKIP_1) | instid1(VALU_DEP_4)
	v_mad_co_u64_u32 v[19:20], null, s13, v23, v[0:1]
	v_mad_co_u64_u32 v[23:24], null, s13, v24, v[16:17]
	;; [unrolled: 1-line block ×3, first 2 shown]
	v_mov_b32_e32 v0, v18
	v_add_co_u32 v9, vcc_lo, v44, v9
	s_wait_alu 0xfffd
	v_add_co_ci_u32_e32 v10, vcc_lo, v46, v10, vcc_lo
	s_delay_alu instid0(VALU_DEP_3)
	v_mad_co_u64_u32 v[26:27], null, s13, v26, v[0:1]
	v_mov_b32_e32 v22, v19
	v_mad_co_u64_u32 v[19:20], null, s12, v29, 0
	v_mov_b32_e32 v0, v25
	global_store_b64 v[9:10], v[13:14], off
	v_mov_b32_e32 v16, v23
	v_lshlrev_b64_e32 v[9:10], 3, v[21:22]
	v_mov_b32_e32 v18, v26
	v_mad_co_u64_u32 v[13:14], null, s13, v28, v[0:1]
	v_mov_b32_e32 v0, v20
	v_lshlrev_b64_e32 v[14:15], 3, v[15:16]
	v_add_co_u32 v9, vcc_lo, v44, v9
	v_lshlrev_b64_e32 v[16:17], 3, v[17:18]
	s_delay_alu instid0(VALU_DEP_4)
	v_mad_co_u64_u32 v[20:21], null, s13, v29, v[0:1]
	v_mov_b32_e32 v25, v13
	s_wait_alu 0xfffd
	v_add_co_ci_u32_e32 v10, vcc_lo, v46, v10, vcc_lo
	v_add_co_u32 v13, vcc_lo, v44, v14
	s_wait_alu 0xfffd
	v_add_co_ci_u32_e32 v14, vcc_lo, v46, v15, vcc_lo
	v_lshlrev_b64_e32 v[21:22], 3, v[24:25]
	v_add_co_u32 v15, vcc_lo, v44, v16
	s_wait_alu 0xfffd
	v_add_co_ci_u32_e32 v16, vcc_lo, v46, v17, vcc_lo
	v_lshlrev_b64_e32 v[17:18], 3, v[19:20]
	s_delay_alu instid0(VALU_DEP_4) | instskip(SKIP_2) | instid1(VALU_DEP_3)
	v_add_co_u32 v19, vcc_lo, v44, v21
	s_wait_alu 0xfffd
	v_add_co_ci_u32_e32 v20, vcc_lo, v46, v22, vcc_lo
	v_add_co_u32 v17, vcc_lo, v44, v17
	s_wait_alu 0xfffd
	v_add_co_ci_u32_e32 v18, vcc_lo, v46, v18, vcc_lo
	s_clause 0x4
	global_store_b64 v[9:10], v[11:12], off
	global_store_b64 v[13:14], v[7:8], off
	;; [unrolled: 1-line block ×5, first 2 shown]
.LBB0_18:
	s_nop 0
	s_sendmsg sendmsg(MSG_DEALLOC_VGPRS)
	s_endpgm
	.section	.rodata,"a",@progbits
	.p2align	6, 0x0
	.amdhsa_kernel fft_rtc_back_len289_factors_17_17_wgs_119_tpt_17_sp_ip_CI_sbcc_twdbase5_3step_dirReg
		.amdhsa_group_segment_fixed_size 0
		.amdhsa_private_segment_fixed_size 0
		.amdhsa_kernarg_size 96
		.amdhsa_user_sgpr_count 2
		.amdhsa_user_sgpr_dispatch_ptr 0
		.amdhsa_user_sgpr_queue_ptr 0
		.amdhsa_user_sgpr_kernarg_segment_ptr 1
		.amdhsa_user_sgpr_dispatch_id 0
		.amdhsa_user_sgpr_private_segment_size 0
		.amdhsa_wavefront_size32 1
		.amdhsa_uses_dynamic_stack 0
		.amdhsa_enable_private_segment 0
		.amdhsa_system_sgpr_workgroup_id_x 1
		.amdhsa_system_sgpr_workgroup_id_y 0
		.amdhsa_system_sgpr_workgroup_id_z 0
		.amdhsa_system_sgpr_workgroup_info 0
		.amdhsa_system_vgpr_workitem_id 0
		.amdhsa_next_free_vgpr 227
		.amdhsa_next_free_sgpr 49
		.amdhsa_reserve_vcc 1
		.amdhsa_float_round_mode_32 0
		.amdhsa_float_round_mode_16_64 0
		.amdhsa_float_denorm_mode_32 3
		.amdhsa_float_denorm_mode_16_64 3
		.amdhsa_fp16_overflow 0
		.amdhsa_workgroup_processor_mode 1
		.amdhsa_memory_ordered 1
		.amdhsa_forward_progress 0
		.amdhsa_round_robin_scheduling 0
		.amdhsa_exception_fp_ieee_invalid_op 0
		.amdhsa_exception_fp_denorm_src 0
		.amdhsa_exception_fp_ieee_div_zero 0
		.amdhsa_exception_fp_ieee_overflow 0
		.amdhsa_exception_fp_ieee_underflow 0
		.amdhsa_exception_fp_ieee_inexact 0
		.amdhsa_exception_int_div_zero 0
	.end_amdhsa_kernel
	.text
.Lfunc_end0:
	.size	fft_rtc_back_len289_factors_17_17_wgs_119_tpt_17_sp_ip_CI_sbcc_twdbase5_3step_dirReg, .Lfunc_end0-fft_rtc_back_len289_factors_17_17_wgs_119_tpt_17_sp_ip_CI_sbcc_twdbase5_3step_dirReg
                                        ; -- End function
	.section	.AMDGPU.csdata,"",@progbits
; Kernel info:
; codeLenInByte = 18028
; NumSgprs: 51
; NumVgprs: 227
; ScratchSize: 0
; MemoryBound: 0
; FloatMode: 240
; IeeeMode: 1
; LDSByteSize: 0 bytes/workgroup (compile time only)
; SGPRBlocks: 6
; VGPRBlocks: 28
; NumSGPRsForWavesPerEU: 51
; NumVGPRsForWavesPerEU: 227
; Occupancy: 6
; WaveLimiterHint : 1
; COMPUTE_PGM_RSRC2:SCRATCH_EN: 0
; COMPUTE_PGM_RSRC2:USER_SGPR: 2
; COMPUTE_PGM_RSRC2:TRAP_HANDLER: 0
; COMPUTE_PGM_RSRC2:TGID_X_EN: 1
; COMPUTE_PGM_RSRC2:TGID_Y_EN: 0
; COMPUTE_PGM_RSRC2:TGID_Z_EN: 0
; COMPUTE_PGM_RSRC2:TIDIG_COMP_CNT: 0
	.text
	.p2alignl 7, 3214868480
	.fill 96, 4, 3214868480
	.type	__hip_cuid_5320a3a41b42784d,@object ; @__hip_cuid_5320a3a41b42784d
	.section	.bss,"aw",@nobits
	.globl	__hip_cuid_5320a3a41b42784d
__hip_cuid_5320a3a41b42784d:
	.byte	0                               ; 0x0
	.size	__hip_cuid_5320a3a41b42784d, 1

	.ident	"AMD clang version 19.0.0git (https://github.com/RadeonOpenCompute/llvm-project roc-6.4.0 25133 c7fe45cf4b819c5991fe208aaa96edf142730f1d)"
	.section	".note.GNU-stack","",@progbits
	.addrsig
	.addrsig_sym __hip_cuid_5320a3a41b42784d
	.amdgpu_metadata
---
amdhsa.kernels:
  - .args:
      - .actual_access:  read_only
        .address_space:  global
        .offset:         0
        .size:           8
        .value_kind:     global_buffer
      - .address_space:  global
        .offset:         8
        .size:           8
        .value_kind:     global_buffer
      - .offset:         16
        .size:           8
        .value_kind:     by_value
      - .actual_access:  read_only
        .address_space:  global
        .offset:         24
        .size:           8
        .value_kind:     global_buffer
      - .actual_access:  read_only
        .address_space:  global
        .offset:         32
        .size:           8
        .value_kind:     global_buffer
      - .offset:         40
        .size:           8
        .value_kind:     by_value
      - .actual_access:  read_only
        .address_space:  global
        .offset:         48
        .size:           8
        .value_kind:     global_buffer
      - .actual_access:  read_only
        .address_space:  global
        .offset:         56
        .size:           8
        .value_kind:     global_buffer
      - .offset:         64
        .size:           4
        .value_kind:     by_value
      - .actual_access:  read_only
        .address_space:  global
        .offset:         72
        .size:           8
        .value_kind:     global_buffer
      - .actual_access:  read_only
        .address_space:  global
        .offset:         80
        .size:           8
        .value_kind:     global_buffer
      - .address_space:  global
        .offset:         88
        .size:           8
        .value_kind:     global_buffer
    .group_segment_fixed_size: 0
    .kernarg_segment_align: 8
    .kernarg_segment_size: 96
    .language:       OpenCL C
    .language_version:
      - 2
      - 0
    .max_flat_workgroup_size: 119
    .name:           fft_rtc_back_len289_factors_17_17_wgs_119_tpt_17_sp_ip_CI_sbcc_twdbase5_3step_dirReg
    .private_segment_fixed_size: 0
    .sgpr_count:     51
    .sgpr_spill_count: 0
    .symbol:         fft_rtc_back_len289_factors_17_17_wgs_119_tpt_17_sp_ip_CI_sbcc_twdbase5_3step_dirReg.kd
    .uniform_work_group_size: 1
    .uses_dynamic_stack: false
    .vgpr_count:     227
    .vgpr_spill_count: 0
    .wavefront_size: 32
    .workgroup_processor_mode: 1
amdhsa.target:   amdgcn-amd-amdhsa--gfx1201
amdhsa.version:
  - 1
  - 2
...

	.end_amdgpu_metadata
